;; amdgpu-corpus repo=ROCm/aiter kind=harvested arch=n/a opt=n/a

/root/src/amdgpu-assembly/repos/ROCm__aiter/hsa/gfx950/i8gemm/I8gemm_bf16_perTokenI8_BpreShuffle_80x128.co:	file format elf64-amdgpu

Disassembly of section .text:

0000000000002000 <_ZN5aiter41I8gemm_bf16_perTokenI8_BpreShuffle_80x128E>:
	s_and_b32 s1, s1, 0xffff                                   // 000000002000: 8601FF01 0000FFFF
	s_load_dwordx2 s[16:17], s[0:1], 0x0                       // 000000002008: C0060400 00000000
	s_load_dwordx2 s[4:5], s[0:1], 0x10                        // 000000002010: C0060100 00000010
	s_load_dwordx2 s[8:9], s[0:1], 0x20                        // 000000002018: C0060200 00000020
	s_load_dwordx2 s[20:21], s[0:1], 0x30                      // 000000002020: C0060500 00000030
	s_load_dwordx2 s[24:25], s[0:1], 0x40                      // 000000002028: C0060600 00000040
	s_load_dwordx2 s[28:29], s[0:1], 0x50                      // 000000002030: C0060700 00000050
	s_load_dword s32, s[0:1], 0x60                             // 000000002038: C0020800 00000060
	s_load_dword s33, s[0:1], 0x70                             // 000000002040: C0020840 00000070
	s_load_dword s34, s[0:1], 0x80                             // 000000002048: C0020880 00000080
	s_load_dword s35, s[0:1], 0x90                             // 000000002050: C00208C0 00000090
	s_load_dword s36, s[0:1], 0xa0                             // 000000002058: C0020900 000000A0
	s_load_dword s37, s[0:1], 0xb0                             // 000000002060: C0020940 000000B0
	s_load_dword s38, s[0:1], 0xc0                             // 000000002068: C0020980 000000C0
	v_lshrrev_b32_e32 v1, 10, v0                               // 000000002070: 2002008A
	v_lshrrev_b32_e32 v2, 10, v1                               // 000000002074: 2004028A
	v_and_b32_e32 v2, 0x3ff, v2                                // 000000002078: 260404FF 000003FF
	v_and_b32_e32 v1, 0x3ff, v1                                // 000000002080: 260202FF 000003FF
	v_and_b32_e32 v0, 0x3ff, v0                                // 000000002088: 260000FF 000003FF
	v_lshrrev_b32_e32 v3, 6, v0                                // 000000002090: 20060086
	v_and_b32_e32 v0, 63, v0                                   // 000000002094: 260000BF
	s_mov_b32 s41, s2                                          // 000000002098: BEA90002
	s_mov_b32 s42, s3                                          // 00000000209C: BEAA0003
	s_waitcnt lgkmcnt(0)                                       // 0000000020A0: BF8CC07F
	v_readfirstlane_b32 s44, v3                                // 0000000020A4: 7E580503
	s_mov_b32 s6, 0x80000000                                   // 0000000020A8: BE8600FF 80000000
	s_mov_b32 s10, 0x80000000                                  // 0000000020B0: BE8A00FF 80000000
	s_mov_b32 s22, 0x80000000                                  // 0000000020B8: BE9600FF 80000000
	s_mov_b32 s26, 0x80000000                                  // 0000000020C0: BE9A00FF 80000000
	s_mov_b32 s30, 0x80000000                                  // 0000000020C8: BE9E00FF 80000000
	s_mov_b32 s7, 0x20000                                      // 0000000020D0: BE8700FF 00020000
	s_mov_b32 s11, 0x20000                                     // 0000000020D8: BE8B00FF 00020000
	s_mov_b32 s23, 0x20000                                     // 0000000020E0: BE9700FF 00020000
	s_mov_b32 s27, 0x20000                                     // 0000000020E8: BE9B00FF 00020000
	s_mov_b32 s31, 0x20000                                     // 0000000020F0: BE9F00FF 00020000
	s_and_b32 s5, s5, 0xffff                                   // 0000000020F8: 8605FF05 0000FFFF
	s_and_b32 s9, s9, 0xffff                                   // 000000002100: 8609FF09 0000FFFF
	s_and_b32 s21, s21, 0xffff                                 // 000000002108: 8615FF15 0000FFFF
	s_and_b32 s25, s25, 0xffff                                 // 000000002110: 8619FF19 0000FFFF
	s_and_b32 s29, s29, 0xffff                                 // 000000002118: 861DFF1D 0000FFFF
	s_or_b32 s5, s5, 0x40000                                   // 000000002120: 8705FF05 00040000
	s_or_b32 s9, s9, 0x40000                                   // 000000002128: 8709FF09 00040000
	s_or_b32 s21, s21, 0x40000                                 // 000000002130: 8715FF15 00040000
	s_or_b32 s25, s25, 0x40000                                 // 000000002138: 8719FF19 00040000
	s_or_b32 s29, s29, 0x40000                                 // 000000002140: 871DFF1D 00040000
	s_mov_b32 s56, s41                                         // 000000002148: BEB80029
	s_mov_b32 s57, s38                                         // 00000000214C: BEB90026
	v_cvt_f32_u32_e32 v4, s57                                  // 000000002150: 7E080C39
	s_sub_i32 s47, 0, s57                                      // 000000002154: 81AF3980
	v_rcp_iflag_f32_e32 v4, v4                                 // 000000002158: 7E084704
	s_nop 0                                                    // 00000000215C: BF800000
	v_mul_f32_e32 v4, 0x4f7ffffe, v4                           // 000000002160: 0A0808FF 4F7FFFFE
	v_cvt_u32_f32_e32 v4, v4                                   // 000000002168: 7E080F04
	v_mul_lo_u32 v5, s47, v4                                   // 00000000216C: D2850005 0002082F
	v_mul_hi_u32 v5, v4, v5                                    // 000000002174: D2860005 00020B04
	v_add_u32_e32 v4, v4, v5                                   // 00000000217C: 68080B04
	v_mul_hi_u32 v4, s56, v4                                   // 000000002180: D2860004 00020838
	v_mul_lo_u32 v5, v4, s57                                   // 000000002188: D2850005 00007304
	v_sub_u32_e32 v7, s56, v5                                  // 000000002190: 6A0E0A38
	v_add_u32_e32 v6, 1, v4                                    // 000000002194: 680C0881
	v_cmp_le_u32_e32 vcc, s57, v7                              // 000000002198: 7D960E39
	v_subrev_u32_e32 v5, s57, v7                               // 00000000219C: 6C0A0E39
	s_nop 0                                                    // 0000000021A0: BF800000
	v_cndmask_b32_e32 v4, v4, v6, vcc                          // 0000000021A4: 00080D04
	v_cndmask_b32_e32 v7, v7, v5, vcc                          // 0000000021A8: 000E0B07
	v_add_u32_e32 v5, 1, v4                                    // 0000000021AC: 680A0881
	v_cmp_le_u32_e32 vcc, s57, v7                              // 0000000021B0: 7D960E39
	s_nop 1                                                    // 0000000021B4: BF800001
	v_cndmask_b32_e32 v7, v4, v5, vcc                          // 0000000021B8: 000E0B04
	s_nop 3                                                    // 0000000021BC: BF800003
	v_readfirstlane_b32 s58, v7                                // 0000000021C0: 7E740507
	s_nop 3                                                    // 0000000021C4: BF800003
	s_mov_b32 s41, s58                                         // 0000000021C8: BEA9003A
	s_mul_i32 s47, s41, s38                                    // 0000000021CC: 922F2629
	s_sub_u32 s75, s56, s47                                    // 0000000021D0: 80CB2F38
	s_mov_b32 s56, s34                                         // 0000000021D4: BEB80022
	s_mov_b32 s57, s38                                         // 0000000021D8: BEB90026
	v_cvt_f32_u32_e32 v4, s57                                  // 0000000021DC: 7E080C39
	s_sub_i32 s47, 0, s57                                      // 0000000021E0: 81AF3980
	v_rcp_iflag_f32_e32 v4, v4                                 // 0000000021E4: 7E084704
	s_nop 0                                                    // 0000000021E8: BF800000
	v_mul_f32_e32 v4, 0x4f7ffffe, v4                           // 0000000021EC: 0A0808FF 4F7FFFFE
	v_cvt_u32_f32_e32 v4, v4                                   // 0000000021F4: 7E080F04
	v_mul_lo_u32 v5, s47, v4                                   // 0000000021F8: D2850005 0002082F
	v_mul_hi_u32 v5, v4, v5                                    // 000000002200: D2860005 00020B04
	v_add_u32_e32 v4, v4, v5                                   // 000000002208: 68080B04
	v_mul_hi_u32 v4, s56, v4                                   // 00000000220C: D2860004 00020838
	v_mul_lo_u32 v5, v4, s57                                   // 000000002214: D2850005 00007304
	v_sub_u32_e32 v7, s56, v5                                  // 00000000221C: 6A0E0A38
	v_add_u32_e32 v6, 1, v4                                    // 000000002220: 680C0881
	v_cmp_le_u32_e32 vcc, s57, v7                              // 000000002224: 7D960E39
	v_subrev_u32_e32 v5, s57, v7                               // 000000002228: 6C0A0E39
	s_nop 0                                                    // 00000000222C: BF800000
	v_cndmask_b32_e32 v4, v4, v6, vcc                          // 000000002230: 00080D04
	v_cndmask_b32_e32 v7, v7, v5, vcc                          // 000000002234: 000E0B07
	v_add_u32_e32 v5, 1, v4                                    // 000000002238: 680A0881
	v_cmp_le_u32_e32 vcc, s57, v7                              // 00000000223C: 7D960E39
	s_nop 1                                                    // 000000002240: BF800001
	v_cndmask_b32_e32 v7, v4, v5, vcc                          // 000000002244: 000E0B04
	s_nop 3                                                    // 000000002248: BF800003
	v_readfirstlane_b32 s58, v7                                // 00000000224C: 7E740507
	s_nop 3                                                    // 000000002250: BF800003
	s_add_u32 s58, 0x7f, s58                                   // 000000002254: 803A3AFF 0000007F
	s_lshr_b32 s58, s58, 7                                     // 00000000225C: 8F3A873A
	s_lshl_b32 s76, s58, 7                                     // 000000002260: 8E4C873A
	s_mul_i32 s48, s76, s75                                    // 000000002264: 92304B4C
	s_sub_i32 s47, s34, s48                                    // 000000002268: 81AF3022
	s_cmp_lt_i32 s47, s76                                      // 00000000226C: BF044C2F
	s_cselect_b32 s34, s47, s76                                // 000000002270: 85224C2F
	s_mul_i32 s47, s42, 0x50                                   // 000000002274: 922FFF2A 00000050
	s_mul_i32 s48, s47, s37                                    // 00000000227C: 9230252F
	s_mul_hi_u32 s49, s47, s37                                 // 000000002280: 9631252F
	s_add_u32 s16, s16, s48                                    // 000000002284: 80103010
	s_addc_u32 s17, s17, s49                                   // 000000002288: 82113111
	s_mul_i32 s47, s41, 0x80                                   // 00000000228C: 922FFF29 00000080
	s_mul_i32 s48, s47, 2                                      // 000000002294: 9230822F
	s_mul_hi_u32 s49, s47, 2                                   // 000000002298: 9631822F
	s_add_u32 s16, s16, s48                                    // 00000000229C: 80103010
	s_addc_u32 s17, s17, s49                                   // 0000000022A0: 82113111
	s_mov_b32 s80, s16                                         // 0000000022A4: BED00010
	s_mov_b32 s81, s17                                         // 0000000022A8: BED10011
	s_mul_i32 s47, s42, 0x50                                   // 0000000022AC: 922FFF2A 00000050
	s_sub_i32 s48, s32, s47                                    // 0000000022B4: 81B02F20
	s_cmp_lt_u32 s48, 0x50                                     // 0000000022B8: BF0AFF30 00000050
	s_cselect_b32 s47, s48, 0x50                               // 0000000022C0: 852FFF30 00000050
	s_mul_i32 s48, s47, s37                                    // 0000000022C8: 9230252F
	s_mov_b32 s18, s48                                         // 0000000022CC: BE920030
	s_mov_b32 s82, 0x80000000                                  // 0000000022D0: BED200FF 80000000
	s_mov_b32 s19, 0x20000                                     // 0000000022D8: BE9300FF 00020000
	s_and_b32 s17, s17, 0xffff                                 // 0000000022E0: 8611FF11 0000FFFF
	s_and_b32 s81, s81, 0xffff                                 // 0000000022E8: 8651FF51 0000FFFF
	s_or_b32 s17, s17, 0x40000                                 // 0000000022F0: 8711FF11 00040000
	s_mov_b32 s45, 0x7060302                                   // 0000000022F8: BEAD00FF 07060302
	v_mov_b32_e32 v13, 0xffff0000                              // 000000002300: 7E1A02FF FFFF0000
	v_mov_b32_e32 v14, 0x7fff0000                              // 000000002308: 7E1C02FF 7FFF0000
	v_mov_b32_e32 v15, 0x7fff                                  // 000000002310: 7E1E02FF 00007FFF
	s_mul_i32 s47, 0x80, s41                                   // 000000002318: 922F29FF 00000080
	s_mul_hi_u32 s48, 4, s47                                   // 000000002320: 96302F84
	s_add_u32 s29, s29, s48                                    // 000000002324: 801D301D
	s_mul_i32 s48, 4, s47                                      // 000000002328: 92302F84
	s_add_u32 s28, s28, s48                                    // 00000000232C: 801C301C
	s_addc_u32 s29, s29, 0                                     // 000000002330: 821D801D
	s_sub_i32 s48, s33, s47                                    // 000000002334: 81B02F21
	s_cmp_lt_u32 s48, 0x80                                     // 000000002338: BF0AFF30 00000080
	s_cselect_b32 s47, s48, 0x80                               // 000000002340: 852FFF30 00000080
	s_mul_i32 s48, 4, s47                                      // 000000002348: 92302F84
	s_mov_b32 s30, s48                                         // 00000000234C: BE9E0030
	s_mov_b32 s31, 0x20000                                     // 000000002350: BE9F00FF 00020000
	v_lshrrev_b32_e32 v4, 4, v0                                // 000000002358: 20080084
	v_lshlrev_b32_e32 v4, 4, v4                                // 00000000235C: 24080884
	s_mul_i32 s49, s44, 0x80                                   // 000000002360: 9231FF2C 00000080
	v_add_u32_e64 v128, v4, s49                                // 000000002368: D1340080 00006304
	v_add_u32_e64 v129, v128, 64                               // 000000002370: D1340081 00018180
	buffer_load_dwordx4 v[130:133], v128, s[28:31], 0 offen    // 000000002378: E05C1000 80078280
	buffer_load_dwordx4 v[134:137], v129, s[28:31], 0 offen    // 000000002380: E05C1000 80078681
	s_mul_i32 s47, 0x50, s42                                   // 000000002388: 922F2AFF 00000050
	s_mul_hi_u32 s48, 4, s47                                   // 000000002390: 96302F84
	s_add_u32 s21, s21, s48                                    // 000000002394: 80153015
	s_mul_i32 s48, 4, s47                                      // 000000002398: 92302F84
	s_add_u32 s20, s20, s48                                    // 00000000239C: 80143014
	s_addc_u32 s21, s21, 0                                     // 0000000023A0: 82158015
	s_sub_i32 s48, s32, s47                                    // 0000000023A4: 81B02F20
	s_cmp_lt_u32 s48, 0x50                                     // 0000000023A8: BF0AFF30 00000050
	s_cselect_b32 s47, s48, 0x50                               // 0000000023B0: 852FFF30 00000050
	s_mul_i32 s48, 4, s47                                      // 0000000023B8: 92302F84
	s_mov_b32 s22, s48                                         // 0000000023BC: BE960030
	s_mov_b32 s23, 0x20000                                     // 0000000023C0: BE9700FF 00020000
	v_and_b32_e64 v124, v0, 15                                 // 0000000023C8: D113007C 00011F00
	v_lshlrev_b32_e32 v124, 2, v124                            // 0000000023D0: 24F8F882
	buffer_load_dword v106, v124, s[20:23], 0 offen            // 0000000023D4: E0501000 80056A7C
	buffer_load_dword v107, v124, s[20:23], 0 offen offset:64  // 0000000023DC: E0501040 80056B7C
	buffer_load_dword v108, v124, s[20:23], 0 offen offset:128 // 0000000023E4: E0501080 80056C7C
	buffer_load_dword v109, v124, s[20:23], 0 offen offset:192 // 0000000023EC: E05010C0 80056D7C
	buffer_load_dword v110, v124, s[20:23], 0 offen offset:256 // 0000000023F4: E0501100 80056E7C
	s_mul_i32 s47, 0x80, s41                                   // 0000000023FC: 922F29FF 00000080
	s_mul_hi_u32 s48, 4, s47                                   // 000000002404: 96302F84
	s_add_u32 s25, s25, s48                                    // 000000002408: 80193019
	s_mul_i32 s48, 4, s47                                      // 00000000240C: 92302F84
	s_add_u32 s24, s24, s48                                    // 000000002410: 80183018
	s_addc_u32 s25, s25, 0                                     // 000000002414: 82198019
	s_sub_i32 s48, s33, s47                                    // 000000002418: 81B02F21
	s_cmp_lt_u32 s48, 0x80                                     // 00000000241C: BF0AFF30 00000080
	s_cselect_b32 s47, s48, 0x80                               // 000000002424: 852FFF30 00000080
	s_mul_i32 s48, 4, s47                                      // 00000000242C: 92302F84
	s_mov_b32 s26, s48                                         // 000000002430: BE9A0030
	s_mov_b32 s27, 0x20000                                     // 000000002434: BE9B00FF 00020000
	v_lshrrev_b32_e32 v4, 4, v0                                // 00000000243C: 20080084
	v_lshlrev_b32_e32 v4, 4, v4                                // 000000002440: 24080884
	s_mul_i32 s49, s44, 0x80                                   // 000000002444: 9231FF2C 00000080
	v_add_u32_e64 v126, v4, s49                                // 00000000244C: D134007E 00006304
	v_add_u32_e64 v127, v126, 64                               // 000000002454: D134007F 0001817E
	buffer_load_dwordx4 v[116:119], v126, s[24:27], 0 offen    // 00000000245C: E05C1000 8006747E
	buffer_load_dwordx4 v[120:123], v127, s[24:27], 0 offen    // 000000002464: E05C1000 8006787F
	v_lshrrev_b32_e32 v4, 5, v0                                // 00000000246C: 20080085
	v_lshlrev_b32_e32 v4, 2, v4                                // 000000002470: 24080882
	v_mul_i32_i24_e32 v4, s35, v4                              // 000000002474: 0C080823
	v_and_b32_e32 v28, 31, v0                                  // 000000002478: 2638009F
	v_lshlrev_b32_e32 v28, 2, v28                              // 00000000247C: 24383882
	s_mul_i32 s47, 0x50, s42                                   // 000000002480: 922F2AFF 00000050
	s_sub_i32 s48, s32, s47                                    // 000000002488: 81B02F20
	s_cmp_lt_u32 s48, 0x50                                     // 00000000248C: BF0AFF30 00000050
	s_cselect_b32 s48, s48, 0x50                               // 000000002494: 8530FF30 00000050
	s_mul_i32 s49, s35, s47                                    // 00000000249C: 92312F23
	s_mul_hi_u32 s47, s35, s47                                 // 0000000024A0: 962F2F23
	s_add_u32 s4, s4, s49                                      // 0000000024A4: 80043104
	s_addc_u32 s5, s5, s47                                     // 0000000024A8: 82052F05
	s_mul_i32 s47, s35, s48                                    // 0000000024AC: 922F3023
	s_mov_b32 s6, s47                                          // 0000000024B0: BE86002F
	s_mov_b32 s7, 0x20000                                      // 0000000024B4: BE8700FF 00020000
	s_mul_i32 s48, s76, s75                                    // 0000000024BC: 92304B4C
	s_add_u32 s4, s48, s4                                      // 0000000024C0: 80040430
	s_addc_u32 s5, 0, s5                                       // 0000000024C4: 82050580
	s_sub_u32 s6, s6, s48                                      // 0000000024C8: 80863006
	s_mul_i32 s47, s35, s44                                    // 0000000024CC: 922F2C23
	v_add3_u32 v28, v4, v28, s47                               // 0000000024D0: D1FF001C 00BE3904
	s_lshl_b32 s47, s35, 3                                     // 0000000024D8: 8E2F8323
	v_add_u32_e32 v29, s47, v28                                // 0000000024DC: 683A382F
	v_add_u32_e32 v30, s47, v29                                // 0000000024E0: 683C3A2F
	v_add_u32_e32 v31, s47, v30                                // 0000000024E4: 683E3C2F
	v_add_u32_e32 v32, s47, v31                                // 0000000024E8: 68403E2F
	v_add_u32_e32 v33, s47, v32                                // 0000000024EC: 6842402F
	v_add_u32_e32 v34, s47, v33                                // 0000000024F0: 6844422F
	v_add_u32_e32 v35, s47, v34                                // 0000000024F4: 6846442F
	v_add_u32_e32 v36, s47, v35                                // 0000000024F8: 6848462F
	v_add_u32_e32 v37, s47, v36                                // 0000000024FC: 684A482F
	s_mov_b32 s51, 0x80                                        // 000000002500: BEB300FF 00000080
	s_mov_b32 s47, 0x50                                        // 000000002508: BEAF00FF 00000050
	s_lshr_b32 s47, s47, 2                                     // 000000002510: 8F2F822F
	s_mul_i32 s47, s47, 32                                     // 000000002514: 922FA02F
	s_mov_b32 s48, 8                                           // 000000002518: BEB00088
	s_add_u32 s47, s47, s48                                    // 00000000251C: 802F302F
	v_lshrrev_b32_e32 v4, 4, v0                                // 000000002520: 20080084
	v_and_b32_e32 v5, 15, v0                                   // 000000002524: 260A008F
	v_and_b32_e32 v6, 3, v5                                    // 000000002528: 260C0A83
	v_lshrrev_b32_e32 v7, 2, v5                                // 00000000252C: 200E0A82
	v_lshlrev_b32_e32 v4, 2, v4                                // 000000002530: 24080882
	v_mul_lo_u32 v6, v6, s47                                   // 000000002534: D2850006 00005F06
	v_lshlrev_b32_e32 v7, 5, v7                                // 00000000253C: 240E0E85
	v_add_u32_e32 v4, v4, v6                                   // 000000002540: 68080D04
	v_add_u32_e32 v4, v4, v7                                   // 000000002544: 68080F04
	v_lshlrev_b32_e32 v38, 2, v4                               // 000000002548: 244C0882
	s_mul_i32 s47, 0xa20, s44                                  // 00000000254C: 922F2CFF 00000A20
	s_add_u32 s53, 0, s47                                      // 000000002554: 80352F80
	s_add_u32 s54, 0x2880, s53                                 // 000000002558: 803635FF 00002880
	s_add_u32 s55, 0x2880, s54                                 // 000000002560: 803736FF 00002880
	s_mov_b32 s52, 0x800                                       // 000000002568: BEB400FF 00000800
	s_mul_i32 s46, 0x80, s41                                   // 000000002570: 922E29FF 00000080
	s_sub_i32 s48, s33, s46                                    // 000000002578: 81B02E21
	s_cmp_lt_u32 s48, 0x80                                     // 00000000257C: BF0AFF30 00000080
	s_cselect_b32 s47, s48, 0x80                               // 000000002584: 852FFF30 00000080
	s_mul_i32 s48, s36, s46                                    // 00000000258C: 92302E24
	s_mul_hi_u32 s49, s36, s46                                 // 000000002590: 96312E24
	s_add_u32 s8, s8, s48                                      // 000000002594: 80083008
	s_addc_u32 s9, s9, s49                                     // 000000002598: 82093109
	s_mul_i32 s48, s36, s47                                    // 00000000259C: 92302F24
	s_mov_b32 s10, s48                                         // 0000000025A0: BE8A0030
	s_mov_b32 s11, 0x20000                                     // 0000000025A4: BE8B00FF 00020000
	s_lshr_b32 s48, s76, 7                                     // 0000000025AC: 8F30874C
	s_mul_i32 s47, s52, s75                                    // 0000000025B0: 922F4B34
	s_mul_i32 s47, s48, s47                                    // 0000000025B4: 922F2F30
	s_add_u32 s8, s47, s8                                      // 0000000025B8: 8008082F
	s_addc_u32 s9, 0, s9                                       // 0000000025BC: 82090980
	s_sub_u32 s10, s10, s47                                    // 0000000025C0: 808A2F0A
	s_lshl_b32 s47, s44, 5                                     // 0000000025C4: 8E2F852C
	s_mul_i32 s47, s36, s47                                    // 0000000025C8: 922F2F24
	v_lshlrev_b32_e32 v40, 4, v0                               // 0000000025CC: 24500084
	v_add_u32_e32 v40, s47, v40                                // 0000000025D0: 6850502F
	s_mov_b32 s47, 0x400                                       // 0000000025D4: BEAF00FF 00000400
	v_add_u32_e64 v41, v40, s47                                // 0000000025DC: D1340029 00005F28
	s_mul_i32 s47, s36, 16                                     // 0000000025E4: 922F9024
	v_add_u32_e64 v42, v40, s47                                // 0000000025E8: D134002A 00005F28
	v_add_u32_e64 v43, v41, s47                                // 0000000025F0: D134002B 00005F29
	s_add_u32 m0, 0, s53                                       // 0000000025F8: 807C3580
	buffer_load_dword v28, s[4:7], 0 offen lds                 // 0000000025FC: E0511000 8001001C
	s_add_u32 m0, 0x100, s53                                   // 000000002604: 807C35FF 00000100
	buffer_load_dword v29, s[4:7], 0 offen lds                 // 00000000260C: E0511000 8001001D
	s_add_u32 m0, 0x200, s53                                   // 000000002614: 807C35FF 00000200
	buffer_load_dword v30, s[4:7], 0 offen lds                 // 00000000261C: E0511000 8001001E
	s_add_u32 m0, 0x300, s53                                   // 000000002624: 807C35FF 00000300
	buffer_load_dword v31, s[4:7], 0 offen lds                 // 00000000262C: E0511000 8001001F
	s_add_u32 m0, 0x400, s53                                   // 000000002634: 807C35FF 00000400
	buffer_load_dword v32, s[4:7], 0 offen lds                 // 00000000263C: E0511000 80010020
	s_add_u32 m0, 0x500, s53                                   // 000000002644: 807C35FF 00000500
	buffer_load_dword v33, s[4:7], 0 offen lds                 // 00000000264C: E0511000 80010021
	s_add_u32 m0, 0x600, s53                                   // 000000002654: 807C35FF 00000600
	buffer_load_dword v34, s[4:7], 0 offen lds                 // 00000000265C: E0511000 80010022
	s_add_u32 m0, 0x700, s53                                   // 000000002664: 807C35FF 00000700
	buffer_load_dword v35, s[4:7], 0 offen lds                 // 00000000266C: E0511000 80010023
	s_add_u32 m0, 0x800, s53                                   // 000000002674: 807C35FF 00000800
	buffer_load_dword v36, s[4:7], 0 offen lds                 // 00000000267C: E0511000 80010024
	s_add_u32 m0, 0x900, s53                                   // 000000002684: 807C35FF 00000900
	buffer_load_dword v37, s[4:7], 0 offen lds                 // 00000000268C: E0511000 80010025
	s_mov_b32 s50, 0                                           // 000000002694: BEB20080
	s_add_u32 s47, 0x80, s50                                   // 000000002698: 802F32FF 00000080
	s_cmp_lt_u32 s47, s34                                      // 0000000026A0: BF0A222F
	s_cselect_b32 s51, s51, 0                                  // 0000000026A4: 85338033
	s_add_u32 s4, s51, s4                                      // 0000000026A8: 80040433
	s_addc_u32 s5, 0, s5                                       // 0000000026AC: 82050580
	s_sub_u32 s6, s6, s51                                      // 0000000026B0: 80863306
	v_mov_b32_e32 v46, 0                                       // 0000000026B4: 7E5C0280
	v_mov_b32_e32 v47, 0                                       // 0000000026B8: 7E5E0280
	v_mov_b32_e32 v48, 0                                       // 0000000026BC: 7E600280
	v_mov_b32_e32 v49, 0                                       // 0000000026C0: 7E620280
	v_mov_b32_e32 v50, 0                                       // 0000000026C4: 7E640280
	v_mov_b32_e32 v51, 0                                       // 0000000026C8: 7E660280
	v_mov_b32_e32 v52, 0                                       // 0000000026CC: 7E680280
	v_mov_b32_e32 v53, 0                                       // 0000000026D0: 7E6A0280
	buffer_load_dwordx4 a[0:3], v40, s[8:11], 0 offen          // 0000000026D4: E05C1000 80820028
	buffer_load_dwordx4 a[4:7], v41, s[8:11], 0 offen          // 0000000026DC: E05C1000 80820429
	buffer_load_dwordx4 a[8:11], v42, s[8:11], 0 offen         // 0000000026E4: E05C1000 8082082A
	buffer_load_dwordx4 a[12:15], v43, s[8:11], 0 offen        // 0000000026EC: E05C1000 80820C2B
	s_mov_b32 s50, 0                                           // 0000000026F4: BEB20080
	s_add_u32 s47, 0x80, s50                                   // 0000000026F8: 802F32FF 00000080
	s_cmp_lt_u32 s47, s34                                      // 000000002700: BF0A222F
	s_cselect_b32 s52, s52, 0                                  // 000000002704: 85348034
	s_add_u32 s8, s52, s8                                      // 000000002708: 80080834
	s_addc_u32 s9, 0, s9                                       // 00000000270C: 82090980
	s_sub_u32 s10, s10, s52                                    // 000000002710: 808A340A
	s_add_u32 m0, 0, s54                                       // 000000002714: 807C3680
	buffer_load_dword v28, s[4:7], 0 offen lds                 // 000000002718: E0511000 8001001C
	s_add_u32 m0, 0x100, s54                                   // 000000002720: 807C36FF 00000100
	buffer_load_dword v29, s[4:7], 0 offen lds                 // 000000002728: E0511000 8001001D
	s_add_u32 m0, 0x200, s54                                   // 000000002730: 807C36FF 00000200
	buffer_load_dword v30, s[4:7], 0 offen lds                 // 000000002738: E0511000 8001001E
	s_add_u32 m0, 0x300, s54                                   // 000000002740: 807C36FF 00000300
	buffer_load_dword v31, s[4:7], 0 offen lds                 // 000000002748: E0511000 8001001F
	s_add_u32 m0, 0x400, s54                                   // 000000002750: 807C36FF 00000400
	buffer_load_dword v32, s[4:7], 0 offen lds                 // 000000002758: E0511000 80010020
	s_add_u32 m0, 0x500, s54                                   // 000000002760: 807C36FF 00000500
	buffer_load_dword v33, s[4:7], 0 offen lds                 // 000000002768: E0511000 80010021
	;; [unrolled: 2-line block ×5, first 2 shown]
	s_add_u32 m0, 0x900, s54                                   // 0000000027A0: 807C36FF 00000900
	buffer_load_dword v37, s[4:7], 0 offen lds                 // 0000000027A8: E0511000 80010025
	s_mov_b32 s50, 0x80                                        // 0000000027B0: BEB200FF 00000080
	s_add_u32 s47, 0x80, s50                                   // 0000000027B8: 802F32FF 00000080
	s_cmp_lt_u32 s47, s34                                      // 0000000027C0: BF0A222F
	s_cselect_b32 s51, s51, 0                                  // 0000000027C4: 85338033
	s_add_u32 s4, s51, s4                                      // 0000000027C8: 80040433
	s_addc_u32 s5, 0, s5                                       // 0000000027CC: 82050580
	s_sub_u32 s6, s6, s51                                      // 0000000027D0: 80863306
	v_mov_b32_e32 v54, 0                                       // 0000000027D4: 7E6C0280
	v_mov_b32_e32 v55, 0                                       // 0000000027D8: 7E6E0280
	v_mov_b32_e32 v56, 0                                       // 0000000027DC: 7E700280
	v_mov_b32_e32 v57, 0                                       // 0000000027E0: 7E720280
	v_mov_b32_e32 v58, 0                                       // 0000000027E4: 7E740280
	v_mov_b32_e32 v59, 0                                       // 0000000027E8: 7E760280
	v_mov_b32_e32 v60, 0                                       // 0000000027EC: 7E780280
	v_mov_b32_e32 v61, 0                                       // 0000000027F0: 7E7A0280
	buffer_load_dwordx4 a[16:19], v40, s[8:11], 0 offen        // 0000000027F4: E05C1000 80821028
	buffer_load_dwordx4 a[20:23], v41, s[8:11], 0 offen        // 0000000027FC: E05C1000 80821429
	buffer_load_dwordx4 a[24:27], v42, s[8:11], 0 offen        // 000000002804: E05C1000 8082182A
	buffer_load_dwordx4 a[28:31], v43, s[8:11], 0 offen        // 00000000280C: E05C1000 80821C2B
	s_mov_b32 s50, 0x80                                        // 000000002814: BEB200FF 00000080
	s_add_u32 s47, 0x80, s50                                   // 00000000281C: 802F32FF 00000080
	s_cmp_lt_u32 s47, s34                                      // 000000002824: BF0A222F
	s_cselect_b32 s52, s52, 0                                  // 000000002828: 85348034
	s_add_u32 s8, s52, s8                                      // 00000000282C: 80080834
	s_addc_u32 s9, 0, s9                                       // 000000002830: 82090980
	s_sub_u32 s10, s10, s52                                    // 000000002834: 808A340A
	s_add_u32 m0, 0, s55                                       // 000000002838: 807C3780
	buffer_load_dword v28, s[4:7], 0 offen lds                 // 00000000283C: E0511000 8001001C
	s_add_u32 m0, 0x100, s55                                   // 000000002844: 807C37FF 00000100
	buffer_load_dword v29, s[4:7], 0 offen lds                 // 00000000284C: E0511000 8001001D
	s_add_u32 m0, 0x200, s55                                   // 000000002854: 807C37FF 00000200
	buffer_load_dword v30, s[4:7], 0 offen lds                 // 00000000285C: E0511000 8001001E
	s_add_u32 m0, 0x300, s55                                   // 000000002864: 807C37FF 00000300
	buffer_load_dword v31, s[4:7], 0 offen lds                 // 00000000286C: E0511000 8001001F
	s_add_u32 m0, 0x400, s55                                   // 000000002874: 807C37FF 00000400
	buffer_load_dword v32, s[4:7], 0 offen lds                 // 00000000287C: E0511000 80010020
	s_add_u32 m0, 0x500, s55                                   // 000000002884: 807C37FF 00000500
	buffer_load_dword v33, s[4:7], 0 offen lds                 // 00000000288C: E0511000 80010021
	s_add_u32 m0, 0x600, s55                                   // 000000002894: 807C37FF 00000600
	buffer_load_dword v34, s[4:7], 0 offen lds                 // 00000000289C: E0511000 80010022
	s_add_u32 m0, 0x700, s55                                   // 0000000028A4: 807C37FF 00000700
	buffer_load_dword v35, s[4:7], 0 offen lds                 // 0000000028AC: E0511000 80010023
	s_add_u32 m0, 0x800, s55                                   // 0000000028B4: 807C37FF 00000800
	buffer_load_dword v36, s[4:7], 0 offen lds                 // 0000000028BC: E0511000 80010024
	s_add_u32 m0, 0x900, s55                                   // 0000000028C4: 807C37FF 00000900
	buffer_load_dword v37, s[4:7], 0 offen lds                 // 0000000028CC: E0511000 80010025
	s_mov_b32 s50, 0x100                                       // 0000000028D4: BEB200FF 00000100
	s_add_u32 s47, 0x80, s50                                   // 0000000028DC: 802F32FF 00000080
	s_cmp_lt_u32 s47, s34                                      // 0000000028E4: BF0A222F
	s_cselect_b32 s51, s51, 0                                  // 0000000028E8: 85338033
	s_add_u32 s4, s51, s4                                      // 0000000028EC: 80040433
	s_addc_u32 s5, 0, s5                                       // 0000000028F0: 82050580
	s_sub_u32 s6, s6, s51                                      // 0000000028F4: 80863306
	v_mov_b32_e32 v62, 0                                       // 0000000028F8: 7E7C0280
	v_mov_b32_e32 v63, 0                                       // 0000000028FC: 7E7E0280
	v_mov_b32_e32 v64, 0                                       // 000000002900: 7E800280
	v_mov_b32_e32 v65, 0                                       // 000000002904: 7E820280
	v_mov_b32_e32 v66, 0                                       // 000000002908: 7E840280
	v_mov_b32_e32 v67, 0                                       // 00000000290C: 7E860280
	v_mov_b32_e32 v68, 0                                       // 000000002910: 7E880280
	v_mov_b32_e32 v69, 0                                       // 000000002914: 7E8A0280
	v_mov_b32_e32 v70, 0                                       // 000000002918: 7E8C0280
	v_mov_b32_e32 v71, 0                                       // 00000000291C: 7E8E0280
	v_mov_b32_e32 v72, 0                                       // 000000002920: 7E900280
	v_mov_b32_e32 v73, 0                                       // 000000002924: 7E920280
	v_mov_b32_e32 v74, 0                                       // 000000002928: 7E940280
	v_mov_b32_e32 v75, 0                                       // 00000000292C: 7E960280
	v_mov_b32_e32 v76, 0                                       // 000000002930: 7E980280
	v_mov_b32_e32 v77, 0                                       // 000000002934: 7E9A0280
	v_mov_b32_e32 v78, 0                                       // 000000002938: 7E9C0280
	v_mov_b32_e32 v79, 0                                       // 00000000293C: 7E9E0280
	v_mov_b32_e32 v80, 0                                       // 000000002940: 7EA00280
	v_mov_b32_e32 v81, 0                                       // 000000002944: 7EA20280
	v_mov_b32_e32 v82, 0                                       // 000000002948: 7EA40280
	v_mov_b32_e32 v83, 0                                       // 00000000294C: 7EA60280
	v_mov_b32_e32 v84, 0                                       // 000000002950: 7EA80280
	v_mov_b32_e32 v85, 0                                       // 000000002954: 7EAA0280
	s_mov_b32 s40, s34                                         // 000000002958: BEA80022
	s_mov_b32 s39, 0                                           // 00000000295C: BEA70080
	s_waitcnt vmcnt(28)                                        // 000000002960: BF8C4F7C
	s_barrier                                                  // 000000002964: BF8A0000
	ds_read_b128 a[48:51], v38                                 // 000000002968: DBFE0000 30000026
	ds_read_b128 a[52:55], v38 offset:64                       // 000000002970: DBFE0040 34000026
	ds_read_b128 a[56:59], v38 offset:512                      // 000000002978: DBFE0200 38000026
	ds_read_b128 a[60:63], v38 offset:576                      // 000000002980: DBFE0240 3C000026
	ds_read_b128 a[64:67], v38 offset:1024                     // 000000002988: DBFE0400 40000026
	ds_read_b128 a[68:71], v38 offset:1088                     // 000000002990: DBFE0440 44000026
	ds_read_b128 a[72:75], v38 offset:1536                     // 000000002998: DBFE0600 48000026
	ds_read_b128 a[76:79], v38 offset:1600                     // 0000000029A0: DBFE0640 4C000026
	ds_read_b128 a[80:83], v38 offset:2048                     // 0000000029A8: DBFE0800 50000026
	ds_read_b128 a[84:87], v38 offset:2112                     // 0000000029B0: DBFE0840 54000026
	s_mov_b32 s47, 0                                           // 0000000029B8: BEAF0080
	s_mov_b32 s48, 1.0                                         // 0000000029BC: BEB000F2
	s_cmp_eq_u32 s47, s75                                      // 0000000029C0: BF064B2F
	s_cselect_b32 s47, s48, 0                                  // 0000000029C4: 852F8030
	v_mul_f32_e64 v130, v130, s47                              // 0000000029C8: D1050082 00005F82
	v_mul_f32_e64 v131, v131, s47                              // 0000000029D0: D1050083 00005F83
	v_mul_f32_e64 v132, v132, s47                              // 0000000029D8: D1050084 00005F84
	v_mul_f32_e64 v133, v133, s47                              // 0000000029E0: D1050085 00005F85
	v_mul_f32_e64 v134, v134, s47                              // 0000000029E8: D1050086 00005F86
	v_mul_f32_e64 v135, v135, s47                              // 0000000029F0: D1050087 00005F87
	v_mul_f32_e64 v136, v136, s47                              // 0000000029F8: D1050088 00005F88
	v_mul_f32_e64 v137, v137, s47                              // 000000002A00: D1050089 00005F89
	v_and_b32_e64 v16, v0, 15                                  // 000000002A08: D1130010 00011F00
	v_mul_lo_u32 v16, v16, s37                                 // 000000002A10: D2850010 00004B10
	v_lshrrev_b32_e32 v4, 4, v0                                // 000000002A18: 20080084
	v_mul_i32_i24_e32 v4, 8, v4                                // 000000002A1C: 0C080888
	v_add_u32_e32 v16, v4, v16                                 // 000000002A20: 68202104
	s_mul_i32 s47, 32, s44                                     // 000000002A24: 922F2CA0
	s_mul_i32 s47, 2, s47                                      // 000000002A28: 922F2F82
	v_add_u32_e32 v16, s47, v16                                // 000000002A2C: 6820202F
	s_mul_i32 s47, 16, s37                                     // 000000002A30: 922F2590
	v_add_u32_e32 v17, s47, v16                                // 000000002A34: 6822202F
	v_add_u32_e32 v18, s47, v17                                // 000000002A38: 6824222F
	v_add_u32_e32 v19, s47, v18                                // 000000002A3C: 6826242F
	v_add_u32_e32 v20, s47, v19                                // 000000002A40: 6828262F
	s_mul_i32 s47, s44, s37                                    // 000000002A44: 922F252C
	v_lshlrev_b32_e32 v5, 2, v0                                // 000000002A48: 240A0082
	v_add_u32_e32 v21, s47, v5                                 // 000000002A4C: 682A0A2F
	s_mul_i32 s47, s42, 0x50                                   // 000000002A50: 922FFF2A 00000050
	s_add_i32 s77, s47, s44                                    // 000000002A58: 814D2C2F
	s_cmp_lt_i32 s39, s40                                      // 000000002A5C: BF042827
	s_cbranch_scc0 label_067E                                  // 000000002A60: BF8403E5

0000000000002a64 <label_0299>:
	s_waitcnt vmcnt(14) lgkmcnt(0)                             // 000000002A64: BF8C007E
	s_barrier                                                  // 000000002A68: BF8A0000
	v_mfma_i32_16x16x32_i8 v[46:49], a[0:1], a[48:49], v[46:49]// 000000002A6C: D3D7002E 1CBA6100
	s_add_u32 m0, 0, s53                                       // 000000002A74: 807C3580
	buffer_load_dword v28, s[4:7], 0 offen lds                 // 000000002A78: E0511000 8001001C
	v_mfma_i32_16x16x32_i8 v[46:49], a[2:3], a[50:51], v[46:49]// 000000002A80: D3D7002E 1CBA6502
	ds_read_b128 a[88:91], v38 offset:10368                    // 000000002A88: DBFE2880 58000026
	v_mfma_i32_16x16x32_i8 v[46:49], a[4:5], a[52:53], v[46:49]// 000000002A90: D3D7002E 1CBA6904
	s_add_u32 m0, 0x100, s53                                   // 000000002A98: 807C35FF 00000100
	buffer_load_dword v29, s[4:7], 0 offen lds                 // 000000002AA0: E0511000 8001001D
	v_mfma_i32_16x16x32_i8 v[46:49], a[6:7], a[54:55], v[46:49]// 000000002AA8: D3D7002E 1CBA6D06
	ds_read_b128 a[92:95], v38 offset:10432                    // 000000002AB0: DBFE28C0 5C000026
	v_mfma_i32_16x16x32_i8 v[50:53], a[8:9], a[48:49], v[50:53]// 000000002AB8: D3D70032 1CCA6108
	buffer_load_dwordx4 a[32:35], v40, s[8:11], 0 offen        // 000000002AC0: E05C1000 80822028
	v_mfma_i32_16x16x32_i8 v[50:53], a[10:11], a[50:51], v[50:53]// 000000002AC8: D3D70032 1CCA650A
	v_mfma_i32_16x16x32_i8 v[50:53], a[12:13], a[52:53], v[50:53]// 000000002AD0: D3D70032 1CCA690C
	buffer_load_dwordx4 a[36:39], v41, s[8:11], 0 offen        // 000000002AD8: E05C1000 80822429
	v_mfma_i32_16x16x32_i8 v[50:53], a[14:15], a[54:55], v[50:53]// 000000002AE0: D3D70032 1CCA6D0E
	v_mfma_i32_16x16x32_i8 v[54:57], a[0:1], a[56:57], v[54:57]// 000000002AE8: D3D70036 1CDA7100
	s_add_u32 m0, 0x200, s53                                   // 000000002AF0: 807C35FF 00000200
	buffer_load_dword v30, s[4:7], 0 offen lds                 // 000000002AF8: E0511000 8001001E
	v_mfma_i32_16x16x32_i8 v[54:57], a[2:3], a[58:59], v[54:57]// 000000002B00: D3D70036 1CDA7502
	ds_read_b128 a[96:99], v38 offset:10880                    // 000000002B08: DBFE2A80 60000026
	v_mfma_i32_16x16x32_i8 v[54:57], a[4:5], a[60:61], v[54:57]// 000000002B10: D3D70036 1CDA7904
	s_add_u32 m0, 0x300, s53                                   // 000000002B18: 807C35FF 00000300
	buffer_load_dword v31, s[4:7], 0 offen lds                 // 000000002B20: E0511000 8001001F
	v_mfma_i32_16x16x32_i8 v[54:57], a[6:7], a[62:63], v[54:57]// 000000002B28: D3D70036 1CDA7D06
	ds_read_b128 a[100:103], v38 offset:10944                  // 000000002B30: DBFE2AC0 64000026
	v_mfma_i32_16x16x32_i8 v[58:61], a[8:9], a[56:57], v[58:61]// 000000002B38: D3D7003A 1CEA7108
	buffer_load_dwordx4 a[40:43], v42, s[8:11], 0 offen        // 000000002B40: E05C1000 8082282A
	v_mfma_i32_16x16x32_i8 v[58:61], a[10:11], a[58:59], v[58:61]// 000000002B48: D3D7003A 1CEA750A
	v_mfma_i32_16x16x32_i8 v[58:61], a[12:13], a[60:61], v[58:61]// 000000002B50: D3D7003A 1CEA790C
	buffer_load_dwordx4 a[44:47], v43, s[8:11], 0 offen        // 000000002B58: E05C1000 80822C2B
	v_mfma_i32_16x16x32_i8 v[58:61], a[14:15], a[62:63], v[58:61]// 000000002B60: D3D7003A 1CEA7D0E
	v_mfma_i32_16x16x32_i8 v[62:65], a[0:1], a[64:65], v[62:65]// 000000002B68: D3D7003E 1CFA8100
	s_add_u32 m0, 0x400, s53                                   // 000000002B70: 807C35FF 00000400
	buffer_load_dword v32, s[4:7], 0 offen lds                 // 000000002B78: E0511000 80010020
	v_mfma_i32_16x16x32_i8 v[62:65], a[2:3], a[66:67], v[62:65]// 000000002B80: D3D7003E 1CFA8502
	ds_read_b128 a[104:107], v38 offset:11392                  // 000000002B88: DBFE2C80 68000026
	v_mfma_i32_16x16x32_i8 v[62:65], a[4:5], a[68:69], v[62:65]// 000000002B90: D3D7003E 1CFA8904
	s_add_u32 m0, 0x500, s53                                   // 000000002B98: 807C35FF 00000500
	buffer_load_dword v33, s[4:7], 0 offen lds                 // 000000002BA0: E0511000 80010021
	v_mfma_i32_16x16x32_i8 v[62:65], a[6:7], a[70:71], v[62:65]// 000000002BA8: D3D7003E 1CFA8D06
	ds_read_b128 a[108:111], v38 offset:11456                  // 000000002BB0: DBFE2CC0 6C000026
	v_mfma_i32_16x16x32_i8 v[66:69], a[8:9], a[64:65], v[66:69]// 000000002BB8: D3D70042 1D0A8108
	v_mfma_i32_16x16x32_i8 v[66:69], a[10:11], a[66:67], v[66:69]// 000000002BC0: D3D70042 1D0A850A
	v_mfma_i32_16x16x32_i8 v[66:69], a[12:13], a[68:69], v[66:69]// 000000002BC8: D3D70042 1D0A890C
	v_mfma_i32_16x16x32_i8 v[66:69], a[14:15], a[70:71], v[66:69]// 000000002BD0: D3D70042 1D0A8D0E
	v_mfma_i32_16x16x32_i8 v[70:73], a[0:1], a[72:73], v[70:73]// 000000002BD8: D3D70046 1D1A9100
	s_add_u32 m0, 0x600, s53                                   // 000000002BE0: 807C35FF 00000600
	buffer_load_dword v34, s[4:7], 0 offen lds                 // 000000002BE8: E0511000 80010022
	v_mfma_i32_16x16x32_i8 v[70:73], a[2:3], a[74:75], v[70:73]// 000000002BF0: D3D70046 1D1A9502
	ds_read_b128 a[112:115], v38 offset:11904                  // 000000002BF8: DBFE2E80 70000026
	v_mfma_i32_16x16x32_i8 v[70:73], a[4:5], a[76:77], v[70:73]// 000000002C00: D3D70046 1D1A9904
	s_add_u32 m0, 0x700, s53                                   // 000000002C08: 807C35FF 00000700
	buffer_load_dword v35, s[4:7], 0 offen lds                 // 000000002C10: E0511000 80010023
	v_mfma_i32_16x16x32_i8 v[70:73], a[6:7], a[78:79], v[70:73]// 000000002C18: D3D70046 1D1A9D06
	ds_read_b128 a[116:119], v38 offset:11968                  // 000000002C20: DBFE2EC0 74000026
	v_mfma_i32_16x16x32_i8 v[74:77], a[8:9], a[72:73], v[74:77]// 000000002C28: D3D7004A 1D2A9108
	v_mfma_i32_16x16x32_i8 v[74:77], a[10:11], a[74:75], v[74:77]// 000000002C30: D3D7004A 1D2A950A
	v_mfma_i32_16x16x32_i8 v[74:77], a[12:13], a[76:77], v[74:77]// 000000002C38: D3D7004A 1D2A990C
	v_mfma_i32_16x16x32_i8 v[74:77], a[14:15], a[78:79], v[74:77]// 000000002C40: D3D7004A 1D2A9D0E
	v_mfma_i32_16x16x32_i8 v[78:81], a[0:1], a[80:81], v[78:81]// 000000002C48: D3D7004E 1D3AA100
	s_add_u32 m0, 0x800, s53                                   // 000000002C50: 807C35FF 00000800
	buffer_load_dword v36, s[4:7], 0 offen lds                 // 000000002C58: E0511000 80010024
	v_mfma_i32_16x16x32_i8 v[78:81], a[2:3], a[82:83], v[78:81]// 000000002C60: D3D7004E 1D3AA502
	ds_read_b128 a[120:123], v38 offset:12416                  // 000000002C68: DBFE3080 78000026
	v_mfma_i32_16x16x32_i8 v[78:81], a[4:5], a[84:85], v[78:81]// 000000002C70: D3D7004E 1D3AA904
	s_add_u32 m0, 0x900, s53                                   // 000000002C78: 807C35FF 00000900
	buffer_load_dword v37, s[4:7], 0 offen lds                 // 000000002C80: E0511000 80010025
	v_mfma_i32_16x16x32_i8 v[78:81], a[6:7], a[86:87], v[78:81]// 000000002C88: D3D7004E 1D3AAD06
	ds_read_b128 a[124:127], v38 offset:12480                  // 000000002C90: DBFE30C0 7C000026
	v_mfma_i32_16x16x32_i8 v[82:85], a[8:9], a[80:81], v[82:85]// 000000002C98: D3D70052 1D4AA108
	v_mfma_i32_16x16x32_i8 v[82:85], a[10:11], a[82:83], v[82:85]// 000000002CA0: D3D70052 1D4AA50A
	s_add_u32 s47, 0x200, s39                                  // 000000002CA8: 802F27FF 00000200
	s_cmp_lt_u32 s47, s40                                      // 000000002CB0: BF0A282F
	s_cselect_b32 s51, s51, 0                                  // 000000002CB4: 85338033
	s_add_u32 s47, 0x180, s39                                  // 000000002CB8: 802F27FF 00000180
	s_cmp_lt_u32 s47, s40                                      // 000000002CC0: BF0A282F
	s_cselect_b32 s52, s52, 0                                  // 000000002CC4: 85348034
	v_mfma_i32_16x16x32_i8 v[82:85], a[12:13], a[84:85], v[82:85]// 000000002CC8: D3D70052 1D4AA90C
	v_mfma_i32_16x16x32_i8 v[82:85], a[14:15], a[86:87], v[82:85]// 000000002CD0: D3D70052 1D4AAD0E
	s_add_u32 s4, s51, s4                                      // 000000002CD8: 80040433
	s_addc_u32 s5, 0, s5                                       // 000000002CDC: 82050580
	s_sub_u32 s6, s6, s51                                      // 000000002CE0: 80863306
	s_add_u32 s8, s52, s8                                      // 000000002CE4: 80080834
	s_addc_u32 s9, 0, s9                                       // 000000002CE8: 82090980
	s_sub_u32 s10, s10, s52                                    // 000000002CEC: 808A340A
	s_addk_i32 s39, 0x80                                       // 000000002CF0: B7270080
	s_cmp_lt_i32 s39, s40                                      // 000000002CF4: BF042827
	s_cbranch_scc0 label_067E                                  // 000000002CF8: BF84033F
	s_waitcnt vmcnt(14) lgkmcnt(0)                             // 000000002CFC: BF8C007E
	s_barrier                                                  // 000000002D00: BF8A0000
	v_mfma_i32_16x16x32_i8 v[46:49], a[16:17], a[88:89], v[46:49]// 000000002D04: D3D7002E 1CBAB110
	s_add_u32 m0, 0, s54                                       // 000000002D0C: 807C3680
	buffer_load_dword v28, s[4:7], 0 offen lds                 // 000000002D10: E0511000 8001001C
	v_mfma_i32_16x16x32_i8 v[46:49], a[18:19], a[90:91], v[46:49]// 000000002D18: D3D7002E 1CBAB512
	ds_read_b128 a[48:51], v38 offset:20736                    // 000000002D20: DBFE5100 30000026
	v_mfma_i32_16x16x32_i8 v[46:49], a[20:21], a[92:93], v[46:49]// 000000002D28: D3D7002E 1CBAB914
	s_add_u32 m0, 0x100, s54                                   // 000000002D30: 807C36FF 00000100
	buffer_load_dword v29, s[4:7], 0 offen lds                 // 000000002D38: E0511000 8001001D
	v_mfma_i32_16x16x32_i8 v[46:49], a[22:23], a[94:95], v[46:49]// 000000002D40: D3D7002E 1CBABD16
	ds_read_b128 a[52:55], v38 offset:20800                    // 000000002D48: DBFE5140 34000026
	v_mfma_i32_16x16x32_i8 v[50:53], a[24:25], a[88:89], v[50:53]// 000000002D50: D3D70032 1CCAB118
	buffer_load_dwordx4 a[0:3], v40, s[8:11], 0 offen          // 000000002D58: E05C1000 80820028
	v_mfma_i32_16x16x32_i8 v[50:53], a[26:27], a[90:91], v[50:53]// 000000002D60: D3D70032 1CCAB51A
	v_mfma_i32_16x16x32_i8 v[50:53], a[28:29], a[92:93], v[50:53]// 000000002D68: D3D70032 1CCAB91C
	buffer_load_dwordx4 a[4:7], v41, s[8:11], 0 offen          // 000000002D70: E05C1000 80820429
	v_mfma_i32_16x16x32_i8 v[50:53], a[30:31], a[94:95], v[50:53]// 000000002D78: D3D70032 1CCABD1E
	v_mfma_i32_16x16x32_i8 v[54:57], a[16:17], a[96:97], v[54:57]// 000000002D80: D3D70036 1CDAC110
	s_add_u32 m0, 0x200, s54                                   // 000000002D88: 807C36FF 00000200
	buffer_load_dword v30, s[4:7], 0 offen lds                 // 000000002D90: E0511000 8001001E
	v_mfma_i32_16x16x32_i8 v[54:57], a[18:19], a[98:99], v[54:57]// 000000002D98: D3D70036 1CDAC512
	ds_read_b128 a[56:59], v38 offset:21248                    // 000000002DA0: DBFE5300 38000026
	v_mfma_i32_16x16x32_i8 v[54:57], a[20:21], a[100:101], v[54:57]// 000000002DA8: D3D70036 1CDAC914
	s_add_u32 m0, 0x300, s54                                   // 000000002DB0: 807C36FF 00000300
	buffer_load_dword v31, s[4:7], 0 offen lds                 // 000000002DB8: E0511000 8001001F
	v_mfma_i32_16x16x32_i8 v[54:57], a[22:23], a[102:103], v[54:57]// 000000002DC0: D3D70036 1CDACD16
	ds_read_b128 a[60:63], v38 offset:21312                    // 000000002DC8: DBFE5340 3C000026
	v_mfma_i32_16x16x32_i8 v[58:61], a[24:25], a[96:97], v[58:61]// 000000002DD0: D3D7003A 1CEAC118
	buffer_load_dwordx4 a[8:11], v42, s[8:11], 0 offen         // 000000002DD8: E05C1000 8082082A
	v_mfma_i32_16x16x32_i8 v[58:61], a[26:27], a[98:99], v[58:61]// 000000002DE0: D3D7003A 1CEAC51A
	v_mfma_i32_16x16x32_i8 v[58:61], a[28:29], a[100:101], v[58:61]// 000000002DE8: D3D7003A 1CEAC91C
	buffer_load_dwordx4 a[12:15], v43, s[8:11], 0 offen        // 000000002DF0: E05C1000 80820C2B
	v_mfma_i32_16x16x32_i8 v[58:61], a[30:31], a[102:103], v[58:61]// 000000002DF8: D3D7003A 1CEACD1E
	v_mfma_i32_16x16x32_i8 v[62:65], a[16:17], a[104:105], v[62:65]// 000000002E00: D3D7003E 1CFAD110
	s_add_u32 m0, 0x400, s54                                   // 000000002E08: 807C36FF 00000400
	buffer_load_dword v32, s[4:7], 0 offen lds                 // 000000002E10: E0511000 80010020
	v_mfma_i32_16x16x32_i8 v[62:65], a[18:19], a[106:107], v[62:65]// 000000002E18: D3D7003E 1CFAD512
	ds_read_b128 a[64:67], v38 offset:21760                    // 000000002E20: DBFE5500 40000026
	v_mfma_i32_16x16x32_i8 v[62:65], a[20:21], a[108:109], v[62:65]// 000000002E28: D3D7003E 1CFAD914
	s_add_u32 m0, 0x500, s54                                   // 000000002E30: 807C36FF 00000500
	buffer_load_dword v33, s[4:7], 0 offen lds                 // 000000002E38: E0511000 80010021
	v_mfma_i32_16x16x32_i8 v[62:65], a[22:23], a[110:111], v[62:65]// 000000002E40: D3D7003E 1CFADD16
	ds_read_b128 a[68:71], v38 offset:21824                    // 000000002E48: DBFE5540 44000026
	v_mfma_i32_16x16x32_i8 v[66:69], a[24:25], a[104:105], v[66:69]// 000000002E50: D3D70042 1D0AD118
	v_mfma_i32_16x16x32_i8 v[66:69], a[26:27], a[106:107], v[66:69]// 000000002E58: D3D70042 1D0AD51A
	v_mfma_i32_16x16x32_i8 v[66:69], a[28:29], a[108:109], v[66:69]// 000000002E60: D3D70042 1D0AD91C
	v_mfma_i32_16x16x32_i8 v[66:69], a[30:31], a[110:111], v[66:69]// 000000002E68: D3D70042 1D0ADD1E
	v_mfma_i32_16x16x32_i8 v[70:73], a[16:17], a[112:113], v[70:73]// 000000002E70: D3D70046 1D1AE110
	s_add_u32 m0, 0x600, s54                                   // 000000002E78: 807C36FF 00000600
	buffer_load_dword v34, s[4:7], 0 offen lds                 // 000000002E80: E0511000 80010022
	v_mfma_i32_16x16x32_i8 v[70:73], a[18:19], a[114:115], v[70:73]// 000000002E88: D3D70046 1D1AE512
	ds_read_b128 a[72:75], v38 offset:22272                    // 000000002E90: DBFE5700 48000026
	v_mfma_i32_16x16x32_i8 v[70:73], a[20:21], a[116:117], v[70:73]// 000000002E98: D3D70046 1D1AE914
	s_add_u32 m0, 0x700, s54                                   // 000000002EA0: 807C36FF 00000700
	buffer_load_dword v35, s[4:7], 0 offen lds                 // 000000002EA8: E0511000 80010023
	v_mfma_i32_16x16x32_i8 v[70:73], a[22:23], a[118:119], v[70:73]// 000000002EB0: D3D70046 1D1AED16
	ds_read_b128 a[76:79], v38 offset:22336                    // 000000002EB8: DBFE5740 4C000026
	v_mfma_i32_16x16x32_i8 v[74:77], a[24:25], a[112:113], v[74:77]// 000000002EC0: D3D7004A 1D2AE118
	v_mfma_i32_16x16x32_i8 v[74:77], a[26:27], a[114:115], v[74:77]// 000000002EC8: D3D7004A 1D2AE51A
	v_mfma_i32_16x16x32_i8 v[74:77], a[28:29], a[116:117], v[74:77]// 000000002ED0: D3D7004A 1D2AE91C
	v_mfma_i32_16x16x32_i8 v[74:77], a[30:31], a[118:119], v[74:77]// 000000002ED8: D3D7004A 1D2AED1E
	v_mfma_i32_16x16x32_i8 v[78:81], a[16:17], a[120:121], v[78:81]// 000000002EE0: D3D7004E 1D3AF110
	s_add_u32 m0, 0x800, s54                                   // 000000002EE8: 807C36FF 00000800
	buffer_load_dword v36, s[4:7], 0 offen lds                 // 000000002EF0: E0511000 80010024
	v_mfma_i32_16x16x32_i8 v[78:81], a[18:19], a[122:123], v[78:81]// 000000002EF8: D3D7004E 1D3AF512
	ds_read_b128 a[80:83], v38 offset:22784                    // 000000002F00: DBFE5900 50000026
	v_mfma_i32_16x16x32_i8 v[78:81], a[20:21], a[124:125], v[78:81]// 000000002F08: D3D7004E 1D3AF914
	s_add_u32 m0, 0x900, s54                                   // 000000002F10: 807C36FF 00000900
	buffer_load_dword v37, s[4:7], 0 offen lds                 // 000000002F18: E0511000 80010025
	v_mfma_i32_16x16x32_i8 v[78:81], a[22:23], a[126:127], v[78:81]// 000000002F20: D3D7004E 1D3AFD16
	ds_read_b128 a[84:87], v38 offset:22848                    // 000000002F28: DBFE5940 54000026
	v_mfma_i32_16x16x32_i8 v[82:85], a[24:25], a[120:121], v[82:85]// 000000002F30: D3D70052 1D4AF118
	v_mfma_i32_16x16x32_i8 v[82:85], a[26:27], a[122:123], v[82:85]// 000000002F38: D3D70052 1D4AF51A
	s_add_u32 s47, 0x200, s39                                  // 000000002F40: 802F27FF 00000200
	s_cmp_lt_u32 s47, s40                                      // 000000002F48: BF0A282F
	s_cselect_b32 s51, s51, 0                                  // 000000002F4C: 85338033
	s_add_u32 s47, 0x180, s39                                  // 000000002F50: 802F27FF 00000180
	s_cmp_lt_u32 s47, s40                                      // 000000002F58: BF0A282F
	s_cselect_b32 s52, s52, 0                                  // 000000002F5C: 85348034
	v_mfma_i32_16x16x32_i8 v[82:85], a[28:29], a[124:125], v[82:85]// 000000002F60: D3D70052 1D4AF91C
	v_mfma_i32_16x16x32_i8 v[82:85], a[30:31], a[126:127], v[82:85]// 000000002F68: D3D70052 1D4AFD1E
	s_add_u32 s4, s51, s4                                      // 000000002F70: 80040433
	s_addc_u32 s5, 0, s5                                       // 000000002F74: 82050580
	s_sub_u32 s6, s6, s51                                      // 000000002F78: 80863306
	s_add_u32 s8, s52, s8                                      // 000000002F7C: 80080834
	s_addc_u32 s9, 0, s9                                       // 000000002F80: 82090980
	s_sub_u32 s10, s10, s52                                    // 000000002F84: 808A340A
	s_addk_i32 s39, 0x80                                       // 000000002F88: B7270080
	s_cmp_lt_i32 s39, s40                                      // 000000002F8C: BF042827
	s_cbranch_scc0 label_067E                                  // 000000002F90: BF840299
	s_waitcnt vmcnt(14) lgkmcnt(0)                             // 000000002F94: BF8C007E
	s_barrier                                                  // 000000002F98: BF8A0000
	v_mfma_i32_16x16x32_i8 v[46:49], a[32:33], a[48:49], v[46:49]// 000000002F9C: D3D7002E 1CBA6120
	s_add_u32 m0, 0, s55                                       // 000000002FA4: 807C3780
	buffer_load_dword v28, s[4:7], 0 offen lds                 // 000000002FA8: E0511000 8001001C
	v_mfma_i32_16x16x32_i8 v[46:49], a[34:35], a[50:51], v[46:49]// 000000002FB0: D3D7002E 1CBA6522
	ds_read_b128 a[88:91], v38                                 // 000000002FB8: DBFE0000 58000026
	v_mfma_i32_16x16x32_i8 v[46:49], a[36:37], a[52:53], v[46:49]// 000000002FC0: D3D7002E 1CBA6924
	s_add_u32 m0, 0x100, s55                                   // 000000002FC8: 807C37FF 00000100
	buffer_load_dword v29, s[4:7], 0 offen lds                 // 000000002FD0: E0511000 8001001D
	v_mfma_i32_16x16x32_i8 v[46:49], a[38:39], a[54:55], v[46:49]// 000000002FD8: D3D7002E 1CBA6D26
	ds_read_b128 a[92:95], v38 offset:64                       // 000000002FE0: DBFE0040 5C000026
	v_mfma_i32_16x16x32_i8 v[50:53], a[40:41], a[48:49], v[50:53]// 000000002FE8: D3D70032 1CCA6128
	buffer_load_dwordx4 a[16:19], v40, s[8:11], 0 offen        // 000000002FF0: E05C1000 80821028
	v_mfma_i32_16x16x32_i8 v[50:53], a[42:43], a[50:51], v[50:53]// 000000002FF8: D3D70032 1CCA652A
	v_mfma_i32_16x16x32_i8 v[50:53], a[44:45], a[52:53], v[50:53]// 000000003000: D3D70032 1CCA692C
	buffer_load_dwordx4 a[20:23], v41, s[8:11], 0 offen        // 000000003008: E05C1000 80821429
	v_mfma_i32_16x16x32_i8 v[50:53], a[46:47], a[54:55], v[50:53]// 000000003010: D3D70032 1CCA6D2E
	v_mfma_i32_16x16x32_i8 v[54:57], a[32:33], a[56:57], v[54:57]// 000000003018: D3D70036 1CDA7120
	s_add_u32 m0, 0x200, s55                                   // 000000003020: 807C37FF 00000200
	buffer_load_dword v30, s[4:7], 0 offen lds                 // 000000003028: E0511000 8001001E
	v_mfma_i32_16x16x32_i8 v[54:57], a[34:35], a[58:59], v[54:57]// 000000003030: D3D70036 1CDA7522
	ds_read_b128 a[96:99], v38 offset:512                      // 000000003038: DBFE0200 60000026
	v_mfma_i32_16x16x32_i8 v[54:57], a[36:37], a[60:61], v[54:57]// 000000003040: D3D70036 1CDA7924
	s_add_u32 m0, 0x300, s55                                   // 000000003048: 807C37FF 00000300
	buffer_load_dword v31, s[4:7], 0 offen lds                 // 000000003050: E0511000 8001001F
	v_mfma_i32_16x16x32_i8 v[54:57], a[38:39], a[62:63], v[54:57]// 000000003058: D3D70036 1CDA7D26
	ds_read_b128 a[100:103], v38 offset:576                    // 000000003060: DBFE0240 64000026
	v_mfma_i32_16x16x32_i8 v[58:61], a[40:41], a[56:57], v[58:61]// 000000003068: D3D7003A 1CEA7128
	buffer_load_dwordx4 a[24:27], v42, s[8:11], 0 offen        // 000000003070: E05C1000 8082182A
	v_mfma_i32_16x16x32_i8 v[58:61], a[42:43], a[58:59], v[58:61]// 000000003078: D3D7003A 1CEA752A
	v_mfma_i32_16x16x32_i8 v[58:61], a[44:45], a[60:61], v[58:61]// 000000003080: D3D7003A 1CEA792C
	buffer_load_dwordx4 a[28:31], v43, s[8:11], 0 offen        // 000000003088: E05C1000 80821C2B
	v_mfma_i32_16x16x32_i8 v[58:61], a[46:47], a[62:63], v[58:61]// 000000003090: D3D7003A 1CEA7D2E
	v_mfma_i32_16x16x32_i8 v[62:65], a[32:33], a[64:65], v[62:65]// 000000003098: D3D7003E 1CFA8120
	s_add_u32 m0, 0x400, s55                                   // 0000000030A0: 807C37FF 00000400
	buffer_load_dword v32, s[4:7], 0 offen lds                 // 0000000030A8: E0511000 80010020
	v_mfma_i32_16x16x32_i8 v[62:65], a[34:35], a[66:67], v[62:65]// 0000000030B0: D3D7003E 1CFA8522
	ds_read_b128 a[104:107], v38 offset:1024                   // 0000000030B8: DBFE0400 68000026
	v_mfma_i32_16x16x32_i8 v[62:65], a[36:37], a[68:69], v[62:65]// 0000000030C0: D3D7003E 1CFA8924
	s_add_u32 m0, 0x500, s55                                   // 0000000030C8: 807C37FF 00000500
	buffer_load_dword v33, s[4:7], 0 offen lds                 // 0000000030D0: E0511000 80010021
	v_mfma_i32_16x16x32_i8 v[62:65], a[38:39], a[70:71], v[62:65]// 0000000030D8: D3D7003E 1CFA8D26
	ds_read_b128 a[108:111], v38 offset:1088                   // 0000000030E0: DBFE0440 6C000026
	v_mfma_i32_16x16x32_i8 v[66:69], a[40:41], a[64:65], v[66:69]// 0000000030E8: D3D70042 1D0A8128
	v_mfma_i32_16x16x32_i8 v[66:69], a[42:43], a[66:67], v[66:69]// 0000000030F0: D3D70042 1D0A852A
	v_mfma_i32_16x16x32_i8 v[66:69], a[44:45], a[68:69], v[66:69]// 0000000030F8: D3D70042 1D0A892C
	v_mfma_i32_16x16x32_i8 v[66:69], a[46:47], a[70:71], v[66:69]// 000000003100: D3D70042 1D0A8D2E
	v_mfma_i32_16x16x32_i8 v[70:73], a[32:33], a[72:73], v[70:73]// 000000003108: D3D70046 1D1A9120
	s_add_u32 m0, 0x600, s55                                   // 000000003110: 807C37FF 00000600
	buffer_load_dword v34, s[4:7], 0 offen lds                 // 000000003118: E0511000 80010022
	v_mfma_i32_16x16x32_i8 v[70:73], a[34:35], a[74:75], v[70:73]// 000000003120: D3D70046 1D1A9522
	ds_read_b128 a[112:115], v38 offset:1536                   // 000000003128: DBFE0600 70000026
	v_mfma_i32_16x16x32_i8 v[70:73], a[36:37], a[76:77], v[70:73]// 000000003130: D3D70046 1D1A9924
	s_add_u32 m0, 0x700, s55                                   // 000000003138: 807C37FF 00000700
	buffer_load_dword v35, s[4:7], 0 offen lds                 // 000000003140: E0511000 80010023
	v_mfma_i32_16x16x32_i8 v[70:73], a[38:39], a[78:79], v[70:73]// 000000003148: D3D70046 1D1A9D26
	ds_read_b128 a[116:119], v38 offset:1600                   // 000000003150: DBFE0640 74000026
	v_mfma_i32_16x16x32_i8 v[74:77], a[40:41], a[72:73], v[74:77]// 000000003158: D3D7004A 1D2A9128
	v_mfma_i32_16x16x32_i8 v[74:77], a[42:43], a[74:75], v[74:77]// 000000003160: D3D7004A 1D2A952A
	v_mfma_i32_16x16x32_i8 v[74:77], a[44:45], a[76:77], v[74:77]// 000000003168: D3D7004A 1D2A992C
	v_mfma_i32_16x16x32_i8 v[74:77], a[46:47], a[78:79], v[74:77]// 000000003170: D3D7004A 1D2A9D2E
	v_mfma_i32_16x16x32_i8 v[78:81], a[32:33], a[80:81], v[78:81]// 000000003178: D3D7004E 1D3AA120
	s_add_u32 m0, 0x800, s55                                   // 000000003180: 807C37FF 00000800
	buffer_load_dword v36, s[4:7], 0 offen lds                 // 000000003188: E0511000 80010024
	v_mfma_i32_16x16x32_i8 v[78:81], a[34:35], a[82:83], v[78:81]// 000000003190: D3D7004E 1D3AA522
	ds_read_b128 a[120:123], v38 offset:2048                   // 000000003198: DBFE0800 78000026
	v_mfma_i32_16x16x32_i8 v[78:81], a[36:37], a[84:85], v[78:81]// 0000000031A0: D3D7004E 1D3AA924
	s_add_u32 m0, 0x900, s55                                   // 0000000031A8: 807C37FF 00000900
	buffer_load_dword v37, s[4:7], 0 offen lds                 // 0000000031B0: E0511000 80010025
	v_mfma_i32_16x16x32_i8 v[78:81], a[38:39], a[86:87], v[78:81]// 0000000031B8: D3D7004E 1D3AAD26
	ds_read_b128 a[124:127], v38 offset:2112                   // 0000000031C0: DBFE0840 7C000026
	v_mfma_i32_16x16x32_i8 v[82:85], a[40:41], a[80:81], v[82:85]// 0000000031C8: D3D70052 1D4AA128
	v_mfma_i32_16x16x32_i8 v[82:85], a[42:43], a[82:83], v[82:85]// 0000000031D0: D3D70052 1D4AA52A
	s_add_u32 s47, 0x200, s39                                  // 0000000031D8: 802F27FF 00000200
	s_cmp_lt_u32 s47, s40                                      // 0000000031E0: BF0A282F
	s_cselect_b32 s51, s51, 0                                  // 0000000031E4: 85338033
	s_add_u32 s47, 0x180, s39                                  // 0000000031E8: 802F27FF 00000180
	s_cmp_lt_u32 s47, s40                                      // 0000000031F0: BF0A282F
	s_cselect_b32 s52, s52, 0                                  // 0000000031F4: 85348034
	v_mfma_i32_16x16x32_i8 v[82:85], a[44:45], a[84:85], v[82:85]// 0000000031F8: D3D70052 1D4AA92C
	v_mfma_i32_16x16x32_i8 v[82:85], a[46:47], a[86:87], v[82:85]// 000000003200: D3D70052 1D4AAD2E
	s_add_u32 s4, s51, s4                                      // 000000003208: 80040433
	s_addc_u32 s5, 0, s5                                       // 00000000320C: 82050580
	s_sub_u32 s6, s6, s51                                      // 000000003210: 80863306
	s_add_u32 s8, s52, s8                                      // 000000003214: 80080834
	s_addc_u32 s9, 0, s9                                       // 000000003218: 82090980
	s_sub_u32 s10, s10, s52                                    // 00000000321C: 808A340A
	s_addk_i32 s39, 0x80                                       // 000000003220: B7270080
	s_cmp_lt_i32 s39, s40                                      // 000000003224: BF042827
	s_cbranch_scc0 label_067E                                  // 000000003228: BF8401F3
	s_waitcnt vmcnt(14) lgkmcnt(0)                             // 00000000322C: BF8C007E
	s_barrier                                                  // 000000003230: BF8A0000
	v_mfma_i32_16x16x32_i8 v[46:49], a[0:1], a[88:89], v[46:49]// 000000003234: D3D7002E 1CBAB100
	s_add_u32 m0, 0, s53                                       // 00000000323C: 807C3580
	buffer_load_dword v28, s[4:7], 0 offen lds                 // 000000003240: E0511000 8001001C
	v_mfma_i32_16x16x32_i8 v[46:49], a[2:3], a[90:91], v[46:49]// 000000003248: D3D7002E 1CBAB502
	ds_read_b128 a[48:51], v38 offset:10368                    // 000000003250: DBFE2880 30000026
	v_mfma_i32_16x16x32_i8 v[46:49], a[4:5], a[92:93], v[46:49]// 000000003258: D3D7002E 1CBAB904
	s_add_u32 m0, 0x100, s53                                   // 000000003260: 807C35FF 00000100
	buffer_load_dword v29, s[4:7], 0 offen lds                 // 000000003268: E0511000 8001001D
	v_mfma_i32_16x16x32_i8 v[46:49], a[6:7], a[94:95], v[46:49]// 000000003270: D3D7002E 1CBABD06
	ds_read_b128 a[52:55], v38 offset:10432                    // 000000003278: DBFE28C0 34000026
	v_mfma_i32_16x16x32_i8 v[50:53], a[8:9], a[88:89], v[50:53]// 000000003280: D3D70032 1CCAB108
	buffer_load_dwordx4 a[32:35], v40, s[8:11], 0 offen        // 000000003288: E05C1000 80822028
	v_mfma_i32_16x16x32_i8 v[50:53], a[10:11], a[90:91], v[50:53]// 000000003290: D3D70032 1CCAB50A
	v_mfma_i32_16x16x32_i8 v[50:53], a[12:13], a[92:93], v[50:53]// 000000003298: D3D70032 1CCAB90C
	buffer_load_dwordx4 a[36:39], v41, s[8:11], 0 offen        // 0000000032A0: E05C1000 80822429
	v_mfma_i32_16x16x32_i8 v[50:53], a[14:15], a[94:95], v[50:53]// 0000000032A8: D3D70032 1CCABD0E
	v_mfma_i32_16x16x32_i8 v[54:57], a[0:1], a[96:97], v[54:57]// 0000000032B0: D3D70036 1CDAC100
	s_add_u32 m0, 0x200, s53                                   // 0000000032B8: 807C35FF 00000200
	buffer_load_dword v30, s[4:7], 0 offen lds                 // 0000000032C0: E0511000 8001001E
	v_mfma_i32_16x16x32_i8 v[54:57], a[2:3], a[98:99], v[54:57]// 0000000032C8: D3D70036 1CDAC502
	ds_read_b128 a[56:59], v38 offset:10880                    // 0000000032D0: DBFE2A80 38000026
	v_mfma_i32_16x16x32_i8 v[54:57], a[4:5], a[100:101], v[54:57]// 0000000032D8: D3D70036 1CDAC904
	s_add_u32 m0, 0x300, s53                                   // 0000000032E0: 807C35FF 00000300
	buffer_load_dword v31, s[4:7], 0 offen lds                 // 0000000032E8: E0511000 8001001F
	v_mfma_i32_16x16x32_i8 v[54:57], a[6:7], a[102:103], v[54:57]// 0000000032F0: D3D70036 1CDACD06
	ds_read_b128 a[60:63], v38 offset:10944                    // 0000000032F8: DBFE2AC0 3C000026
	v_mfma_i32_16x16x32_i8 v[58:61], a[8:9], a[96:97], v[58:61]// 000000003300: D3D7003A 1CEAC108
	buffer_load_dwordx4 a[40:43], v42, s[8:11], 0 offen        // 000000003308: E05C1000 8082282A
	v_mfma_i32_16x16x32_i8 v[58:61], a[10:11], a[98:99], v[58:61]// 000000003310: D3D7003A 1CEAC50A
	v_mfma_i32_16x16x32_i8 v[58:61], a[12:13], a[100:101], v[58:61]// 000000003318: D3D7003A 1CEAC90C
	buffer_load_dwordx4 a[44:47], v43, s[8:11], 0 offen        // 000000003320: E05C1000 80822C2B
	v_mfma_i32_16x16x32_i8 v[58:61], a[14:15], a[102:103], v[58:61]// 000000003328: D3D7003A 1CEACD0E
	v_mfma_i32_16x16x32_i8 v[62:65], a[0:1], a[104:105], v[62:65]// 000000003330: D3D7003E 1CFAD100
	s_add_u32 m0, 0x400, s53                                   // 000000003338: 807C35FF 00000400
	buffer_load_dword v32, s[4:7], 0 offen lds                 // 000000003340: E0511000 80010020
	v_mfma_i32_16x16x32_i8 v[62:65], a[2:3], a[106:107], v[62:65]// 000000003348: D3D7003E 1CFAD502
	ds_read_b128 a[64:67], v38 offset:11392                    // 000000003350: DBFE2C80 40000026
	v_mfma_i32_16x16x32_i8 v[62:65], a[4:5], a[108:109], v[62:65]// 000000003358: D3D7003E 1CFAD904
	s_add_u32 m0, 0x500, s53                                   // 000000003360: 807C35FF 00000500
	buffer_load_dword v33, s[4:7], 0 offen lds                 // 000000003368: E0511000 80010021
	v_mfma_i32_16x16x32_i8 v[62:65], a[6:7], a[110:111], v[62:65]// 000000003370: D3D7003E 1CFADD06
	ds_read_b128 a[68:71], v38 offset:11456                    // 000000003378: DBFE2CC0 44000026
	v_mfma_i32_16x16x32_i8 v[66:69], a[8:9], a[104:105], v[66:69]// 000000003380: D3D70042 1D0AD108
	v_mfma_i32_16x16x32_i8 v[66:69], a[10:11], a[106:107], v[66:69]// 000000003388: D3D70042 1D0AD50A
	v_mfma_i32_16x16x32_i8 v[66:69], a[12:13], a[108:109], v[66:69]// 000000003390: D3D70042 1D0AD90C
	v_mfma_i32_16x16x32_i8 v[66:69], a[14:15], a[110:111], v[66:69]// 000000003398: D3D70042 1D0ADD0E
	v_mfma_i32_16x16x32_i8 v[70:73], a[0:1], a[112:113], v[70:73]// 0000000033A0: D3D70046 1D1AE100
	s_add_u32 m0, 0x600, s53                                   // 0000000033A8: 807C35FF 00000600
	buffer_load_dword v34, s[4:7], 0 offen lds                 // 0000000033B0: E0511000 80010022
	v_mfma_i32_16x16x32_i8 v[70:73], a[2:3], a[114:115], v[70:73]// 0000000033B8: D3D70046 1D1AE502
	ds_read_b128 a[72:75], v38 offset:11904                    // 0000000033C0: DBFE2E80 48000026
	v_mfma_i32_16x16x32_i8 v[70:73], a[4:5], a[116:117], v[70:73]// 0000000033C8: D3D70046 1D1AE904
	s_add_u32 m0, 0x700, s53                                   // 0000000033D0: 807C35FF 00000700
	buffer_load_dword v35, s[4:7], 0 offen lds                 // 0000000033D8: E0511000 80010023
	v_mfma_i32_16x16x32_i8 v[70:73], a[6:7], a[118:119], v[70:73]// 0000000033E0: D3D70046 1D1AED06
	ds_read_b128 a[76:79], v38 offset:11968                    // 0000000033E8: DBFE2EC0 4C000026
	v_mfma_i32_16x16x32_i8 v[74:77], a[8:9], a[112:113], v[74:77]// 0000000033F0: D3D7004A 1D2AE108
	v_mfma_i32_16x16x32_i8 v[74:77], a[10:11], a[114:115], v[74:77]// 0000000033F8: D3D7004A 1D2AE50A
	v_mfma_i32_16x16x32_i8 v[74:77], a[12:13], a[116:117], v[74:77]// 000000003400: D3D7004A 1D2AE90C
	v_mfma_i32_16x16x32_i8 v[74:77], a[14:15], a[118:119], v[74:77]// 000000003408: D3D7004A 1D2AED0E
	v_mfma_i32_16x16x32_i8 v[78:81], a[0:1], a[120:121], v[78:81]// 000000003410: D3D7004E 1D3AF100
	s_add_u32 m0, 0x800, s53                                   // 000000003418: 807C35FF 00000800
	buffer_load_dword v36, s[4:7], 0 offen lds                 // 000000003420: E0511000 80010024
	v_mfma_i32_16x16x32_i8 v[78:81], a[2:3], a[122:123], v[78:81]// 000000003428: D3D7004E 1D3AF502
	ds_read_b128 a[80:83], v38 offset:12416                    // 000000003430: DBFE3080 50000026
	v_mfma_i32_16x16x32_i8 v[78:81], a[4:5], a[124:125], v[78:81]// 000000003438: D3D7004E 1D3AF904
	s_add_u32 m0, 0x900, s53                                   // 000000003440: 807C35FF 00000900
	buffer_load_dword v37, s[4:7], 0 offen lds                 // 000000003448: E0511000 80010025
	v_mfma_i32_16x16x32_i8 v[78:81], a[6:7], a[126:127], v[78:81]// 000000003450: D3D7004E 1D3AFD06
	ds_read_b128 a[84:87], v38 offset:12480                    // 000000003458: DBFE30C0 54000026
	v_mfma_i32_16x16x32_i8 v[82:85], a[8:9], a[120:121], v[82:85]// 000000003460: D3D70052 1D4AF108
	v_mfma_i32_16x16x32_i8 v[82:85], a[10:11], a[122:123], v[82:85]// 000000003468: D3D70052 1D4AF50A
	s_add_u32 s47, 0x200, s39                                  // 000000003470: 802F27FF 00000200
	s_cmp_lt_u32 s47, s40                                      // 000000003478: BF0A282F
	s_cselect_b32 s51, s51, 0                                  // 00000000347C: 85338033
	s_add_u32 s47, 0x180, s39                                  // 000000003480: 802F27FF 00000180
	s_cmp_lt_u32 s47, s40                                      // 000000003488: BF0A282F
	s_cselect_b32 s52, s52, 0                                  // 00000000348C: 85348034
	v_mfma_i32_16x16x32_i8 v[82:85], a[12:13], a[124:125], v[82:85]// 000000003490: D3D70052 1D4AF90C
	v_mfma_i32_16x16x32_i8 v[82:85], a[14:15], a[126:127], v[82:85]// 000000003498: D3D70052 1D4AFD0E
	s_add_u32 s4, s51, s4                                      // 0000000034A0: 80040433
	s_addc_u32 s5, 0, s5                                       // 0000000034A4: 82050580
	s_sub_u32 s6, s6, s51                                      // 0000000034A8: 80863306
	s_add_u32 s8, s52, s8                                      // 0000000034AC: 80080834
	s_addc_u32 s9, 0, s9                                       // 0000000034B0: 82090980
	s_sub_u32 s10, s10, s52                                    // 0000000034B4: 808A340A
	s_addk_i32 s39, 0x80                                       // 0000000034B8: B7270080
	s_cmp_lt_i32 s39, s40                                      // 0000000034BC: BF042827
	s_cbranch_scc0 label_067E                                  // 0000000034C0: BF84014D
	s_waitcnt vmcnt(14) lgkmcnt(0)                             // 0000000034C4: BF8C007E
	s_barrier                                                  // 0000000034C8: BF8A0000
	v_mfma_i32_16x16x32_i8 v[46:49], a[16:17], a[48:49], v[46:49]// 0000000034CC: D3D7002E 1CBA6110
	s_add_u32 m0, 0, s54                                       // 0000000034D4: 807C3680
	buffer_load_dword v28, s[4:7], 0 offen lds                 // 0000000034D8: E0511000 8001001C
	v_mfma_i32_16x16x32_i8 v[46:49], a[18:19], a[50:51], v[46:49]// 0000000034E0: D3D7002E 1CBA6512
	ds_read_b128 a[88:91], v38 offset:20736                    // 0000000034E8: DBFE5100 58000026
	v_mfma_i32_16x16x32_i8 v[46:49], a[20:21], a[52:53], v[46:49]// 0000000034F0: D3D7002E 1CBA6914
	s_add_u32 m0, 0x100, s54                                   // 0000000034F8: 807C36FF 00000100
	buffer_load_dword v29, s[4:7], 0 offen lds                 // 000000003500: E0511000 8001001D
	v_mfma_i32_16x16x32_i8 v[46:49], a[22:23], a[54:55], v[46:49]// 000000003508: D3D7002E 1CBA6D16
	ds_read_b128 a[92:95], v38 offset:20800                    // 000000003510: DBFE5140 5C000026
	v_mfma_i32_16x16x32_i8 v[50:53], a[24:25], a[48:49], v[50:53]// 000000003518: D3D70032 1CCA6118
	buffer_load_dwordx4 a[0:3], v40, s[8:11], 0 offen          // 000000003520: E05C1000 80820028
	v_mfma_i32_16x16x32_i8 v[50:53], a[26:27], a[50:51], v[50:53]// 000000003528: D3D70032 1CCA651A
	v_mfma_i32_16x16x32_i8 v[50:53], a[28:29], a[52:53], v[50:53]// 000000003530: D3D70032 1CCA691C
	buffer_load_dwordx4 a[4:7], v41, s[8:11], 0 offen          // 000000003538: E05C1000 80820429
	v_mfma_i32_16x16x32_i8 v[50:53], a[30:31], a[54:55], v[50:53]// 000000003540: D3D70032 1CCA6D1E
	v_mfma_i32_16x16x32_i8 v[54:57], a[16:17], a[56:57], v[54:57]// 000000003548: D3D70036 1CDA7110
	s_add_u32 m0, 0x200, s54                                   // 000000003550: 807C36FF 00000200
	buffer_load_dword v30, s[4:7], 0 offen lds                 // 000000003558: E0511000 8001001E
	v_mfma_i32_16x16x32_i8 v[54:57], a[18:19], a[58:59], v[54:57]// 000000003560: D3D70036 1CDA7512
	ds_read_b128 a[96:99], v38 offset:21248                    // 000000003568: DBFE5300 60000026
	v_mfma_i32_16x16x32_i8 v[54:57], a[20:21], a[60:61], v[54:57]// 000000003570: D3D70036 1CDA7914
	s_add_u32 m0, 0x300, s54                                   // 000000003578: 807C36FF 00000300
	buffer_load_dword v31, s[4:7], 0 offen lds                 // 000000003580: E0511000 8001001F
	v_mfma_i32_16x16x32_i8 v[54:57], a[22:23], a[62:63], v[54:57]// 000000003588: D3D70036 1CDA7D16
	ds_read_b128 a[100:103], v38 offset:21312                  // 000000003590: DBFE5340 64000026
	v_mfma_i32_16x16x32_i8 v[58:61], a[24:25], a[56:57], v[58:61]// 000000003598: D3D7003A 1CEA7118
	buffer_load_dwordx4 a[8:11], v42, s[8:11], 0 offen         // 0000000035A0: E05C1000 8082082A
	v_mfma_i32_16x16x32_i8 v[58:61], a[26:27], a[58:59], v[58:61]// 0000000035A8: D3D7003A 1CEA751A
	v_mfma_i32_16x16x32_i8 v[58:61], a[28:29], a[60:61], v[58:61]// 0000000035B0: D3D7003A 1CEA791C
	buffer_load_dwordx4 a[12:15], v43, s[8:11], 0 offen        // 0000000035B8: E05C1000 80820C2B
	v_mfma_i32_16x16x32_i8 v[58:61], a[30:31], a[62:63], v[58:61]// 0000000035C0: D3D7003A 1CEA7D1E
	v_mfma_i32_16x16x32_i8 v[62:65], a[16:17], a[64:65], v[62:65]// 0000000035C8: D3D7003E 1CFA8110
	s_add_u32 m0, 0x400, s54                                   // 0000000035D0: 807C36FF 00000400
	buffer_load_dword v32, s[4:7], 0 offen lds                 // 0000000035D8: E0511000 80010020
	v_mfma_i32_16x16x32_i8 v[62:65], a[18:19], a[66:67], v[62:65]// 0000000035E0: D3D7003E 1CFA8512
	ds_read_b128 a[104:107], v38 offset:21760                  // 0000000035E8: DBFE5500 68000026
	v_mfma_i32_16x16x32_i8 v[62:65], a[20:21], a[68:69], v[62:65]// 0000000035F0: D3D7003E 1CFA8914
	s_add_u32 m0, 0x500, s54                                   // 0000000035F8: 807C36FF 00000500
	buffer_load_dword v33, s[4:7], 0 offen lds                 // 000000003600: E0511000 80010021
	v_mfma_i32_16x16x32_i8 v[62:65], a[22:23], a[70:71], v[62:65]// 000000003608: D3D7003E 1CFA8D16
	ds_read_b128 a[108:111], v38 offset:21824                  // 000000003610: DBFE5540 6C000026
	v_mfma_i32_16x16x32_i8 v[66:69], a[24:25], a[64:65], v[66:69]// 000000003618: D3D70042 1D0A8118
	v_mfma_i32_16x16x32_i8 v[66:69], a[26:27], a[66:67], v[66:69]// 000000003620: D3D70042 1D0A851A
	v_mfma_i32_16x16x32_i8 v[66:69], a[28:29], a[68:69], v[66:69]// 000000003628: D3D70042 1D0A891C
	v_mfma_i32_16x16x32_i8 v[66:69], a[30:31], a[70:71], v[66:69]// 000000003630: D3D70042 1D0A8D1E
	v_mfma_i32_16x16x32_i8 v[70:73], a[16:17], a[72:73], v[70:73]// 000000003638: D3D70046 1D1A9110
	s_add_u32 m0, 0x600, s54                                   // 000000003640: 807C36FF 00000600
	buffer_load_dword v34, s[4:7], 0 offen lds                 // 000000003648: E0511000 80010022
	v_mfma_i32_16x16x32_i8 v[70:73], a[18:19], a[74:75], v[70:73]// 000000003650: D3D70046 1D1A9512
	ds_read_b128 a[112:115], v38 offset:22272                  // 000000003658: DBFE5700 70000026
	v_mfma_i32_16x16x32_i8 v[70:73], a[20:21], a[76:77], v[70:73]// 000000003660: D3D70046 1D1A9914
	s_add_u32 m0, 0x700, s54                                   // 000000003668: 807C36FF 00000700
	buffer_load_dword v35, s[4:7], 0 offen lds                 // 000000003670: E0511000 80010023
	v_mfma_i32_16x16x32_i8 v[70:73], a[22:23], a[78:79], v[70:73]// 000000003678: D3D70046 1D1A9D16
	ds_read_b128 a[116:119], v38 offset:22336                  // 000000003680: DBFE5740 74000026
	v_mfma_i32_16x16x32_i8 v[74:77], a[24:25], a[72:73], v[74:77]// 000000003688: D3D7004A 1D2A9118
	v_mfma_i32_16x16x32_i8 v[74:77], a[26:27], a[74:75], v[74:77]// 000000003690: D3D7004A 1D2A951A
	v_mfma_i32_16x16x32_i8 v[74:77], a[28:29], a[76:77], v[74:77]// 000000003698: D3D7004A 1D2A991C
	v_mfma_i32_16x16x32_i8 v[74:77], a[30:31], a[78:79], v[74:77]// 0000000036A0: D3D7004A 1D2A9D1E
	v_mfma_i32_16x16x32_i8 v[78:81], a[16:17], a[80:81], v[78:81]// 0000000036A8: D3D7004E 1D3AA110
	s_add_u32 m0, 0x800, s54                                   // 0000000036B0: 807C36FF 00000800
	buffer_load_dword v36, s[4:7], 0 offen lds                 // 0000000036B8: E0511000 80010024
	v_mfma_i32_16x16x32_i8 v[78:81], a[18:19], a[82:83], v[78:81]// 0000000036C0: D3D7004E 1D3AA512
	ds_read_b128 a[120:123], v38 offset:22784                  // 0000000036C8: DBFE5900 78000026
	v_mfma_i32_16x16x32_i8 v[78:81], a[20:21], a[84:85], v[78:81]// 0000000036D0: D3D7004E 1D3AA914
	s_add_u32 m0, 0x900, s54                                   // 0000000036D8: 807C36FF 00000900
	buffer_load_dword v37, s[4:7], 0 offen lds                 // 0000000036E0: E0511000 80010025
	v_mfma_i32_16x16x32_i8 v[78:81], a[22:23], a[86:87], v[78:81]// 0000000036E8: D3D7004E 1D3AAD16
	ds_read_b128 a[124:127], v38 offset:22848                  // 0000000036F0: DBFE5940 7C000026
	v_mfma_i32_16x16x32_i8 v[82:85], a[24:25], a[80:81], v[82:85]// 0000000036F8: D3D70052 1D4AA118
	v_mfma_i32_16x16x32_i8 v[82:85], a[26:27], a[82:83], v[82:85]// 000000003700: D3D70052 1D4AA51A
	s_add_u32 s47, 0x200, s39                                  // 000000003708: 802F27FF 00000200
	s_cmp_lt_u32 s47, s40                                      // 000000003710: BF0A282F
	s_cselect_b32 s51, s51, 0                                  // 000000003714: 85338033
	s_add_u32 s47, 0x180, s39                                  // 000000003718: 802F27FF 00000180
	s_cmp_lt_u32 s47, s40                                      // 000000003720: BF0A282F
	s_cselect_b32 s52, s52, 0                                  // 000000003724: 85348034
	v_mfma_i32_16x16x32_i8 v[82:85], a[28:29], a[84:85], v[82:85]// 000000003728: D3D70052 1D4AA91C
	v_mfma_i32_16x16x32_i8 v[82:85], a[30:31], a[86:87], v[82:85]// 000000003730: D3D70052 1D4AAD1E
	s_add_u32 s4, s51, s4                                      // 000000003738: 80040433
	s_addc_u32 s5, 0, s5                                       // 00000000373C: 82050580
	s_sub_u32 s6, s6, s51                                      // 000000003740: 80863306
	s_add_u32 s8, s52, s8                                      // 000000003744: 80080834
	s_addc_u32 s9, 0, s9                                       // 000000003748: 82090980
	s_sub_u32 s10, s10, s52                                    // 00000000374C: 808A340A
	s_addk_i32 s39, 0x80                                       // 000000003750: B7270080
	s_cmp_lt_i32 s39, s40                                      // 000000003754: BF042827
	s_cbranch_scc0 label_067E                                  // 000000003758: BF8400A7
	s_waitcnt vmcnt(14) lgkmcnt(0)                             // 00000000375C: BF8C007E
	s_barrier                                                  // 000000003760: BF8A0000
	v_mfma_i32_16x16x32_i8 v[46:49], a[32:33], a[88:89], v[46:49]// 000000003764: D3D7002E 1CBAB120
	s_add_u32 m0, 0, s55                                       // 00000000376C: 807C3780
	buffer_load_dword v28, s[4:7], 0 offen lds                 // 000000003770: E0511000 8001001C
	v_mfma_i32_16x16x32_i8 v[46:49], a[34:35], a[90:91], v[46:49]// 000000003778: D3D7002E 1CBAB522
	ds_read_b128 a[48:51], v38                                 // 000000003780: DBFE0000 30000026
	v_mfma_i32_16x16x32_i8 v[46:49], a[36:37], a[92:93], v[46:49]// 000000003788: D3D7002E 1CBAB924
	s_add_u32 m0, 0x100, s55                                   // 000000003790: 807C37FF 00000100
	buffer_load_dword v29, s[4:7], 0 offen lds                 // 000000003798: E0511000 8001001D
	v_mfma_i32_16x16x32_i8 v[46:49], a[38:39], a[94:95], v[46:49]// 0000000037A0: D3D7002E 1CBABD26
	ds_read_b128 a[52:55], v38 offset:64                       // 0000000037A8: DBFE0040 34000026
	v_mfma_i32_16x16x32_i8 v[50:53], a[40:41], a[88:89], v[50:53]// 0000000037B0: D3D70032 1CCAB128
	buffer_load_dwordx4 a[16:19], v40, s[8:11], 0 offen        // 0000000037B8: E05C1000 80821028
	v_mfma_i32_16x16x32_i8 v[50:53], a[42:43], a[90:91], v[50:53]// 0000000037C0: D3D70032 1CCAB52A
	v_mfma_i32_16x16x32_i8 v[50:53], a[44:45], a[92:93], v[50:53]// 0000000037C8: D3D70032 1CCAB92C
	buffer_load_dwordx4 a[20:23], v41, s[8:11], 0 offen        // 0000000037D0: E05C1000 80821429
	v_mfma_i32_16x16x32_i8 v[50:53], a[46:47], a[94:95], v[50:53]// 0000000037D8: D3D70032 1CCABD2E
	v_mfma_i32_16x16x32_i8 v[54:57], a[32:33], a[96:97], v[54:57]// 0000000037E0: D3D70036 1CDAC120
	s_add_u32 m0, 0x200, s55                                   // 0000000037E8: 807C37FF 00000200
	buffer_load_dword v30, s[4:7], 0 offen lds                 // 0000000037F0: E0511000 8001001E
	v_mfma_i32_16x16x32_i8 v[54:57], a[34:35], a[98:99], v[54:57]// 0000000037F8: D3D70036 1CDAC522
	ds_read_b128 a[56:59], v38 offset:512                      // 000000003800: DBFE0200 38000026
	v_mfma_i32_16x16x32_i8 v[54:57], a[36:37], a[100:101], v[54:57]// 000000003808: D3D70036 1CDAC924
	s_add_u32 m0, 0x300, s55                                   // 000000003810: 807C37FF 00000300
	buffer_load_dword v31, s[4:7], 0 offen lds                 // 000000003818: E0511000 8001001F
	v_mfma_i32_16x16x32_i8 v[54:57], a[38:39], a[102:103], v[54:57]// 000000003820: D3D70036 1CDACD26
	ds_read_b128 a[60:63], v38 offset:576                      // 000000003828: DBFE0240 3C000026
	v_mfma_i32_16x16x32_i8 v[58:61], a[40:41], a[96:97], v[58:61]// 000000003830: D3D7003A 1CEAC128
	buffer_load_dwordx4 a[24:27], v42, s[8:11], 0 offen        // 000000003838: E05C1000 8082182A
	v_mfma_i32_16x16x32_i8 v[58:61], a[42:43], a[98:99], v[58:61]// 000000003840: D3D7003A 1CEAC52A
	v_mfma_i32_16x16x32_i8 v[58:61], a[44:45], a[100:101], v[58:61]// 000000003848: D3D7003A 1CEAC92C
	buffer_load_dwordx4 a[28:31], v43, s[8:11], 0 offen        // 000000003850: E05C1000 80821C2B
	v_mfma_i32_16x16x32_i8 v[58:61], a[46:47], a[102:103], v[58:61]// 000000003858: D3D7003A 1CEACD2E
	v_mfma_i32_16x16x32_i8 v[62:65], a[32:33], a[104:105], v[62:65]// 000000003860: D3D7003E 1CFAD120
	s_add_u32 m0, 0x400, s55                                   // 000000003868: 807C37FF 00000400
	buffer_load_dword v32, s[4:7], 0 offen lds                 // 000000003870: E0511000 80010020
	v_mfma_i32_16x16x32_i8 v[62:65], a[34:35], a[106:107], v[62:65]// 000000003878: D3D7003E 1CFAD522
	ds_read_b128 a[64:67], v38 offset:1024                     // 000000003880: DBFE0400 40000026
	v_mfma_i32_16x16x32_i8 v[62:65], a[36:37], a[108:109], v[62:65]// 000000003888: D3D7003E 1CFAD924
	s_add_u32 m0, 0x500, s55                                   // 000000003890: 807C37FF 00000500
	buffer_load_dword v33, s[4:7], 0 offen lds                 // 000000003898: E0511000 80010021
	v_mfma_i32_16x16x32_i8 v[62:65], a[38:39], a[110:111], v[62:65]// 0000000038A0: D3D7003E 1CFADD26
	ds_read_b128 a[68:71], v38 offset:1088                     // 0000000038A8: DBFE0440 44000026
	v_mfma_i32_16x16x32_i8 v[66:69], a[40:41], a[104:105], v[66:69]// 0000000038B0: D3D70042 1D0AD128
	v_mfma_i32_16x16x32_i8 v[66:69], a[42:43], a[106:107], v[66:69]// 0000000038B8: D3D70042 1D0AD52A
	v_mfma_i32_16x16x32_i8 v[66:69], a[44:45], a[108:109], v[66:69]// 0000000038C0: D3D70042 1D0AD92C
	v_mfma_i32_16x16x32_i8 v[66:69], a[46:47], a[110:111], v[66:69]// 0000000038C8: D3D70042 1D0ADD2E
	v_mfma_i32_16x16x32_i8 v[70:73], a[32:33], a[112:113], v[70:73]// 0000000038D0: D3D70046 1D1AE120
	s_add_u32 m0, 0x600, s55                                   // 0000000038D8: 807C37FF 00000600
	buffer_load_dword v34, s[4:7], 0 offen lds                 // 0000000038E0: E0511000 80010022
	v_mfma_i32_16x16x32_i8 v[70:73], a[34:35], a[114:115], v[70:73]// 0000000038E8: D3D70046 1D1AE522
	ds_read_b128 a[72:75], v38 offset:1536                     // 0000000038F0: DBFE0600 48000026
	v_mfma_i32_16x16x32_i8 v[70:73], a[36:37], a[116:117], v[70:73]// 0000000038F8: D3D70046 1D1AE924
	s_add_u32 m0, 0x700, s55                                   // 000000003900: 807C37FF 00000700
	buffer_load_dword v35, s[4:7], 0 offen lds                 // 000000003908: E0511000 80010023
	v_mfma_i32_16x16x32_i8 v[70:73], a[38:39], a[118:119], v[70:73]// 000000003910: D3D70046 1D1AED26
	ds_read_b128 a[76:79], v38 offset:1600                     // 000000003918: DBFE0640 4C000026
	v_mfma_i32_16x16x32_i8 v[74:77], a[40:41], a[112:113], v[74:77]// 000000003920: D3D7004A 1D2AE128
	v_mfma_i32_16x16x32_i8 v[74:77], a[42:43], a[114:115], v[74:77]// 000000003928: D3D7004A 1D2AE52A
	v_mfma_i32_16x16x32_i8 v[74:77], a[44:45], a[116:117], v[74:77]// 000000003930: D3D7004A 1D2AE92C
	v_mfma_i32_16x16x32_i8 v[74:77], a[46:47], a[118:119], v[74:77]// 000000003938: D3D7004A 1D2AED2E
	v_mfma_i32_16x16x32_i8 v[78:81], a[32:33], a[120:121], v[78:81]// 000000003940: D3D7004E 1D3AF120
	s_add_u32 m0, 0x800, s55                                   // 000000003948: 807C37FF 00000800
	buffer_load_dword v36, s[4:7], 0 offen lds                 // 000000003950: E0511000 80010024
	v_mfma_i32_16x16x32_i8 v[78:81], a[34:35], a[122:123], v[78:81]// 000000003958: D3D7004E 1D3AF522
	ds_read_b128 a[80:83], v38 offset:2048                     // 000000003960: DBFE0800 50000026
	v_mfma_i32_16x16x32_i8 v[78:81], a[36:37], a[124:125], v[78:81]// 000000003968: D3D7004E 1D3AF924
	s_add_u32 m0, 0x900, s55                                   // 000000003970: 807C37FF 00000900
	buffer_load_dword v37, s[4:7], 0 offen lds                 // 000000003978: E0511000 80010025
	v_mfma_i32_16x16x32_i8 v[78:81], a[38:39], a[126:127], v[78:81]// 000000003980: D3D7004E 1D3AFD26
	ds_read_b128 a[84:87], v38 offset:2112                     // 000000003988: DBFE0840 54000026
	v_mfma_i32_16x16x32_i8 v[82:85], a[40:41], a[120:121], v[82:85]// 000000003990: D3D70052 1D4AF128
	v_mfma_i32_16x16x32_i8 v[82:85], a[42:43], a[122:123], v[82:85]// 000000003998: D3D70052 1D4AF52A
	s_add_u32 s47, 0x200, s39                                  // 0000000039A0: 802F27FF 00000200
	s_cmp_lt_u32 s47, s40                                      // 0000000039A8: BF0A282F
	s_cselect_b32 s51, s51, 0                                  // 0000000039AC: 85338033
	s_add_u32 s47, 0x180, s39                                  // 0000000039B0: 802F27FF 00000180
	s_cmp_lt_u32 s47, s40                                      // 0000000039B8: BF0A282F
	s_cselect_b32 s52, s52, 0                                  // 0000000039BC: 85348034
	v_mfma_i32_16x16x32_i8 v[82:85], a[44:45], a[124:125], v[82:85]// 0000000039C0: D3D70052 1D4AF92C
	v_mfma_i32_16x16x32_i8 v[82:85], a[46:47], a[126:127], v[82:85]// 0000000039C8: D3D70052 1D4AFD2E
	s_add_u32 s4, s51, s4                                      // 0000000039D0: 80040433
	s_addc_u32 s5, 0, s5                                       // 0000000039D4: 82050580
	s_sub_u32 s6, s6, s51                                      // 0000000039D8: 80863306
	s_add_u32 s8, s52, s8                                      // 0000000039DC: 80080834
	s_addc_u32 s9, 0, s9                                       // 0000000039E0: 82090980
	s_sub_u32 s10, s10, s52                                    // 0000000039E4: 808A340A
	s_addk_i32 s39, 0x80                                       // 0000000039E8: B7270080
	s_cmp_lt_i32 s39, s40                                      // 0000000039EC: BF042827
	s_cbranch_scc0 label_067E                                  // 0000000039F0: BF840001
	s_branch label_0299                                        // 0000000039F4: BF82FC1B

00000000000039f8 <label_067E>:
	s_cmp_eq_u32 s38, 1                                        // 0000000039F8: BF068126
	s_cbranch_scc1 label_0835                                  // 0000000039FC: BF8501B5
	v_cvt_f32_i32_e32 v46, v46                                 // 000000003A00: 7E5C0B2E
	v_cvt_f32_i32_e32 v47, v47                                 // 000000003A04: 7E5E0B2F
	v_pk_mul_f32 v[46:47], v[46:47], v[116:117]                // 000000003A08: D3B1402E 1802E92E
	v_fma_f32 v46, v46, v106, v130                             // 000000003A10: D1CB002E 060AD52E
	v_fma_f32 v47, v47, v106, v131                             // 000000003A18: D1CB002F 060ED52F
	v_perm_b32 v86, v47, v46, s45                              // 000000003A20: D1ED0056 00B65D2F
	v_cvt_f32_i32_e32 v48, v48                                 // 000000003A28: 7E600B30
	v_cvt_f32_i32_e32 v49, v49                                 // 000000003A2C: 7E620B31
	v_pk_mul_f32 v[48:49], v[48:49], v[118:119]                // 000000003A30: D3B14030 1802ED30
	v_fma_f32 v48, v48, v106, v132                             // 000000003A38: D1CB0030 0612D530
	v_fma_f32 v49, v49, v106, v133                             // 000000003A40: D1CB0031 0616D531
	v_perm_b32 v87, v49, v48, s45                              // 000000003A48: D1ED0057 00B66131
	v_cvt_f32_i32_e32 v50, v50                                 // 000000003A50: 7E640B32
	v_cvt_f32_i32_e32 v51, v51                                 // 000000003A54: 7E660B33
	v_pk_mul_f32 v[50:51], v[50:51], v[120:121]                // 000000003A58: D3B14032 1802F132
	v_fma_f32 v50, v50, v106, v134                             // 000000003A60: D1CB0032 061AD532
	v_fma_f32 v51, v51, v106, v135                             // 000000003A68: D1CB0033 061ED533
	v_perm_b32 v88, v51, v50, s45                              // 000000003A70: D1ED0058 00B66533
	v_cvt_f32_i32_e32 v52, v52                                 // 000000003A78: 7E680B34
	v_cvt_f32_i32_e32 v53, v53                                 // 000000003A7C: 7E6A0B35
	v_pk_mul_f32 v[52:53], v[52:53], v[122:123]                // 000000003A80: D3B14034 1802F534
	v_fma_f32 v52, v52, v106, v136                             // 000000003A88: D1CB0034 0622D534
	v_fma_f32 v53, v53, v106, v137                             // 000000003A90: D1CB0035 0626D535
	v_perm_b32 v89, v53, v52, s45                              // 000000003A98: D1ED0059 00B66935
	v_cvt_f32_i32_e32 v54, v54                                 // 000000003AA0: 7E6C0B36
	v_cvt_f32_i32_e32 v55, v55                                 // 000000003AA4: 7E6E0B37
	v_pk_mul_f32 v[54:55], v[54:55], v[116:117]                // 000000003AA8: D3B14036 1802E936
	v_fma_f32 v54, v54, v107, v130                             // 000000003AB0: D1CB0036 060AD736
	v_fma_f32 v55, v55, v107, v131                             // 000000003AB8: D1CB0037 060ED737
	v_perm_b32 v90, v55, v54, s45                              // 000000003AC0: D1ED005A 00B66D37
	v_cvt_f32_i32_e32 v56, v56                                 // 000000003AC8: 7E700B38
	v_cvt_f32_i32_e32 v57, v57                                 // 000000003ACC: 7E720B39
	v_pk_mul_f32 v[56:57], v[56:57], v[118:119]                // 000000003AD0: D3B14038 1802ED38
	v_fma_f32 v56, v56, v107, v132                             // 000000003AD8: D1CB0038 0612D738
	v_fma_f32 v57, v57, v107, v133                             // 000000003AE0: D1CB0039 0616D739
	v_perm_b32 v91, v57, v56, s45                              // 000000003AE8: D1ED005B 00B67139
	v_cvt_f32_i32_e32 v58, v58                                 // 000000003AF0: 7E740B3A
	v_cvt_f32_i32_e32 v59, v59                                 // 000000003AF4: 7E760B3B
	v_pk_mul_f32 v[58:59], v[58:59], v[120:121]                // 000000003AF8: D3B1403A 1802F13A
	v_fma_f32 v58, v58, v107, v134                             // 000000003B00: D1CB003A 061AD73A
	v_fma_f32 v59, v59, v107, v135                             // 000000003B08: D1CB003B 061ED73B
	v_perm_b32 v92, v59, v58, s45                              // 000000003B10: D1ED005C 00B6753B
	v_cvt_f32_i32_e32 v60, v60                                 // 000000003B18: 7E780B3C
	v_cvt_f32_i32_e32 v61, v61                                 // 000000003B1C: 7E7A0B3D
	v_pk_mul_f32 v[60:61], v[60:61], v[122:123]                // 000000003B20: D3B1403C 1802F53C
	v_fma_f32 v60, v60, v107, v136                             // 000000003B28: D1CB003C 0622D73C
	v_fma_f32 v61, v61, v107, v137                             // 000000003B30: D1CB003D 0626D73D
	v_perm_b32 v93, v61, v60, s45                              // 000000003B38: D1ED005D 00B6793D
	v_cvt_f32_i32_e32 v62, v62                                 // 000000003B40: 7E7C0B3E
	v_cvt_f32_i32_e32 v63, v63                                 // 000000003B44: 7E7E0B3F
	v_pk_mul_f32 v[62:63], v[62:63], v[116:117]                // 000000003B48: D3B1403E 1802E93E
	v_fma_f32 v62, v62, v108, v130                             // 000000003B50: D1CB003E 060AD93E
	v_fma_f32 v63, v63, v108, v131                             // 000000003B58: D1CB003F 060ED93F
	v_perm_b32 v94, v63, v62, s45                              // 000000003B60: D1ED005E 00B67D3F
	v_cvt_f32_i32_e32 v64, v64                                 // 000000003B68: 7E800B40
	v_cvt_f32_i32_e32 v65, v65                                 // 000000003B6C: 7E820B41
	v_pk_mul_f32 v[64:65], v[64:65], v[118:119]                // 000000003B70: D3B14040 1802ED40
	v_fma_f32 v64, v64, v108, v132                             // 000000003B78: D1CB0040 0612D940
	v_fma_f32 v65, v65, v108, v133                             // 000000003B80: D1CB0041 0616D941
	v_perm_b32 v95, v65, v64, s45                              // 000000003B88: D1ED005F 00B68141
	v_cvt_f32_i32_e32 v66, v66                                 // 000000003B90: 7E840B42
	v_cvt_f32_i32_e32 v67, v67                                 // 000000003B94: 7E860B43
	v_pk_mul_f32 v[66:67], v[66:67], v[120:121]                // 000000003B98: D3B14042 1802F142
	v_fma_f32 v66, v66, v108, v134                             // 000000003BA0: D1CB0042 061AD942
	v_fma_f32 v67, v67, v108, v135                             // 000000003BA8: D1CB0043 061ED943
	v_perm_b32 v96, v67, v66, s45                              // 000000003BB0: D1ED0060 00B68543
	v_cvt_f32_i32_e32 v68, v68                                 // 000000003BB8: 7E880B44
	v_cvt_f32_i32_e32 v69, v69                                 // 000000003BBC: 7E8A0B45
	v_pk_mul_f32 v[68:69], v[68:69], v[122:123]                // 000000003BC0: D3B14044 1802F544
	v_fma_f32 v68, v68, v108, v136                             // 000000003BC8: D1CB0044 0622D944
	v_fma_f32 v69, v69, v108, v137                             // 000000003BD0: D1CB0045 0626D945
	v_perm_b32 v97, v69, v68, s45                              // 000000003BD8: D1ED0061 00B68945
	v_cvt_f32_i32_e32 v70, v70                                 // 000000003BE0: 7E8C0B46
	v_cvt_f32_i32_e32 v71, v71                                 // 000000003BE4: 7E8E0B47
	v_pk_mul_f32 v[70:71], v[70:71], v[116:117]                // 000000003BE8: D3B14046 1802E946
	v_fma_f32 v70, v70, v109, v130                             // 000000003BF0: D1CB0046 060ADB46
	v_fma_f32 v71, v71, v109, v131                             // 000000003BF8: D1CB0047 060EDB47
	v_perm_b32 v98, v71, v70, s45                              // 000000003C00: D1ED0062 00B68D47
	v_cvt_f32_i32_e32 v72, v72                                 // 000000003C08: 7E900B48
	v_cvt_f32_i32_e32 v73, v73                                 // 000000003C0C: 7E920B49
	v_pk_mul_f32 v[72:73], v[72:73], v[118:119]                // 000000003C10: D3B14048 1802ED48
	v_fma_f32 v72, v72, v109, v132                             // 000000003C18: D1CB0048 0612DB48
	v_fma_f32 v73, v73, v109, v133                             // 000000003C20: D1CB0049 0616DB49
	v_perm_b32 v99, v73, v72, s45                              // 000000003C28: D1ED0063 00B69149
	v_cvt_f32_i32_e32 v74, v74                                 // 000000003C30: 7E940B4A
	v_cvt_f32_i32_e32 v75, v75                                 // 000000003C34: 7E960B4B
	v_pk_mul_f32 v[74:75], v[74:75], v[120:121]                // 000000003C38: D3B1404A 1802F14A
	v_fma_f32 v74, v74, v109, v134                             // 000000003C40: D1CB004A 061ADB4A
	v_fma_f32 v75, v75, v109, v135                             // 000000003C48: D1CB004B 061EDB4B
	v_perm_b32 v100, v75, v74, s45                             // 000000003C50: D1ED0064 00B6954B
	v_cvt_f32_i32_e32 v76, v76                                 // 000000003C58: 7E980B4C
	v_cvt_f32_i32_e32 v77, v77                                 // 000000003C5C: 7E9A0B4D
	v_pk_mul_f32 v[76:77], v[76:77], v[122:123]                // 000000003C60: D3B1404C 1802F54C
	v_fma_f32 v76, v76, v109, v136                             // 000000003C68: D1CB004C 0622DB4C
	v_fma_f32 v77, v77, v109, v137                             // 000000003C70: D1CB004D 0626DB4D
	v_perm_b32 v101, v77, v76, s45                             // 000000003C78: D1ED0065 00B6994D
	v_cvt_f32_i32_e32 v78, v78                                 // 000000003C80: 7E9C0B4E
	v_cvt_f32_i32_e32 v79, v79                                 // 000000003C84: 7E9E0B4F
	v_pk_mul_f32 v[78:79], v[78:79], v[116:117]                // 000000003C88: D3B1404E 1802E94E
	v_fma_f32 v78, v78, v110, v130                             // 000000003C90: D1CB004E 060ADD4E
	v_fma_f32 v79, v79, v110, v131                             // 000000003C98: D1CB004F 060EDD4F
	v_perm_b32 v102, v79, v78, s45                             // 000000003CA0: D1ED0066 00B69D4F
	v_cvt_f32_i32_e32 v80, v80                                 // 000000003CA8: 7EA00B50
	v_cvt_f32_i32_e32 v81, v81                                 // 000000003CAC: 7EA20B51
	v_pk_mul_f32 v[80:81], v[80:81], v[118:119]                // 000000003CB0: D3B14050 1802ED50
	v_fma_f32 v80, v80, v110, v132                             // 000000003CB8: D1CB0050 0612DD50
	v_fma_f32 v81, v81, v110, v133                             // 000000003CC0: D1CB0051 0616DD51
	v_perm_b32 v103, v81, v80, s45                             // 000000003CC8: D1ED0067 00B6A151
	v_cvt_f32_i32_e32 v82, v82                                 // 000000003CD0: 7EA40B52
	v_cvt_f32_i32_e32 v83, v83                                 // 000000003CD4: 7EA60B53
	v_pk_mul_f32 v[82:83], v[82:83], v[120:121]                // 000000003CD8: D3B14052 1802F152
	v_fma_f32 v82, v82, v110, v134                             // 000000003CE0: D1CB0052 061ADD52
	v_fma_f32 v83, v83, v110, v135                             // 000000003CE8: D1CB0053 061EDD53
	v_perm_b32 v104, v83, v82, s45                             // 000000003CF0: D1ED0068 00B6A553
	v_cvt_f32_i32_e32 v84, v84                                 // 000000003CF8: 7EA80B54
	v_cvt_f32_i32_e32 v85, v85                                 // 000000003CFC: 7EAA0B55
	v_pk_mul_f32 v[84:85], v[84:85], v[122:123]                // 000000003D00: D3B14054 1802F554
	v_fma_f32 v84, v84, v110, v136                             // 000000003D08: D1CB0054 0622DD54
	v_fma_f32 v85, v85, v110, v137                             // 000000003D10: D1CB0055 0626DD55
	v_perm_b32 v105, v85, v84, s45                             // 000000003D18: D1ED0069 00B6A955
	v_lshrrev_b32_e32 v4, 4, v0                                // 000000003D20: 20080084
	v_mul_u32_u24_e32 v38, 34, v4                              // 000000003D24: 104C08A2
	v_and_b32_e32 v4, 15, v0                                   // 000000003D28: 2608008F
	v_mul_lo_u32 v5, 2, v4                                     // 000000003D2C: D2850005 00020882
	v_add_u32_e32 v38, v5, v38                                 // 000000003D34: 684C4D05
	s_mul_i32 s47, s44, 0x110                                  // 000000003D38: 922FFF2C 00000110
	v_add_u32_e32 v38, s47, v38                                // 000000003D40: 684C4C2F
	v_lshlrev_b32_e32 v38, 2, v38                              // 000000003D44: 244C4C82
	v_lshrrev_b32_e32 v4, 1, v0                                // 000000003D48: 20080081
	v_mul_u32_u24_e32 v44, 34, v4                              // 000000003D4C: 105808A2
	v_and_b32_e32 v5, 1, v0                                    // 000000003D50: 260A0081
	v_add_u32_e32 v44, v5, v44                                 // 000000003D54: 68585905
	s_mul_i32 s47, s44, 2                                      // 000000003D58: 922F822C
	v_add_u32_e32 v44, s47, v44                                // 000000003D5C: 6858582F
	v_lshlrev_b32_e32 v44, 2, v44                              // 000000003D60: 24585882
	s_waitcnt vmcnt(0) expcnt(0) lgkmcnt(0)                    // 000000003D64: BF8C0000
	s_barrier                                                  // 000000003D68: BF8A0000
	ds_write_b64 v38, v[86:87]                                 // 000000003D6C: D89A0000 00005626
	ds_write_b64 v38, v[88:89] offset:544                      // 000000003D74: D89A0220 00005826
	ds_write_b64 v38, v[90:91] offset:4352                     // 000000003D7C: D89A1100 00005A26
	ds_write_b64 v38, v[92:93] offset:4896                     // 000000003D84: D89A1320 00005C26
	ds_write_b64 v38, v[94:95] offset:8704                     // 000000003D8C: D89A2200 00005E26
	ds_write_b64 v38, v[96:97] offset:9248                     // 000000003D94: D89A2420 00006026
	ds_write_b64 v38, v[98:99] offset:13056                    // 000000003D9C: D89A3300 00006226
	ds_write_b64 v38, v[100:101] offset:13600                  // 000000003DA4: D89A3520 00006426
	ds_write_b64 v38, v[102:103] offset:17408                  // 000000003DAC: D89A4400 00006626
	ds_write_b64 v38, v[104:105] offset:17952                  // 000000003DB4: D89A4620 00006826
	s_waitcnt lgkmcnt(0)                                       // 000000003DBC: BF8CC07F
	s_barrier                                                  // 000000003DC0: BF8A0000
	ds_read_b32 v86, v44                                       // 000000003DC4: D86C0000 5600002C
	ds_read_b32 v87, v44 offset:32                             // 000000003DCC: D86C0020 5700002C
	ds_read_b32 v88, v44 offset:64                             // 000000003DD4: D86C0040 5800002C
	ds_read_b32 v89, v44 offset:96                             // 000000003DDC: D86C0060 5900002C
	ds_read_b32 v90, v44 offset:4352                           // 000000003DE4: D86C1100 5A00002C
	ds_read_b32 v91, v44 offset:4384                           // 000000003DEC: D86C1120 5B00002C
	ds_read_b32 v92, v44 offset:4416                           // 000000003DF4: D86C1140 5C00002C
	ds_read_b32 v93, v44 offset:4448                           // 000000003DFC: D86C1160 5D00002C
	ds_read_b32 v94, v44 offset:8704                           // 000000003E04: D86C2200 5E00002C
	ds_read_b32 v95, v44 offset:8736                           // 000000003E0C: D86C2220 5F00002C
	ds_read_b32 v96, v44 offset:8768                           // 000000003E14: D86C2240 6000002C
	ds_read_b32 v97, v44 offset:8800                           // 000000003E1C: D86C2260 6100002C
	ds_read_b32 v98, v44 offset:13056                          // 000000003E24: D86C3300 6200002C
	ds_read_b32 v99, v44 offset:13088                          // 000000003E2C: D86C3320 6300002C
	ds_read_b32 v100, v44 offset:13120                         // 000000003E34: D86C3340 6400002C
	ds_read_b32 v101, v44 offset:13152                         // 000000003E3C: D86C3360 6500002C
	ds_read_b32 v102, v44 offset:17408                         // 000000003E44: D86C4400 6600002C
	ds_read_b32 v103, v44 offset:17440                         // 000000003E4C: D86C4420 6700002C
	ds_read_b32 v104, v44 offset:17472                         // 000000003E54: D86C4440 6800002C
	ds_read_b32 v105, v44 offset:17504                         // 000000003E5C: D86C4460 6900002C
	s_waitcnt lgkmcnt(0)                                       // 000000003E64: BF8CC07F
	s_barrier                                                  // 000000003E68: BF8A0000
	s_mul_i32 s47, s37, 4                                      // 000000003E6C: 922F8425
	s_mul_i32 s48, s37, 8                                      // 000000003E70: 92308825
	s_mul_i32 s49, s37, 16                                     // 000000003E74: 92319025
	v_mov_b32_e32 v4, v21                                      // 000000003E78: 7E080315
	v_mov_b32_e32 v5, 0                                        // 000000003E7C: 7E0A0280
	v_mov_b32_e32 v7, 0                                        // 000000003E80: 7E0E0280
	v_mov_b32_e32 v9, 0                                        // 000000003E84: 7E120280
	v_mov_b32_e32 v11, 0                                       // 000000003E88: 7E160280
	v_mov_b32_e32 v6, v4                                       // 000000003E8C: 7E0C0304
	v_add_u32_e64 v10, v4, s48                                 // 000000003E90: D134000A 00006104
	s_cmp_ge_u32 s77, s32                                      // 000000003E98: BF09204D
	s_cbranch_scc1 label_0911                                  // 000000003E9C: BF850169
	global_atomic_pk_add_bf16 v6, v86, s[80:81]                // 000000003EA0: DD488000 00505606
	v_add_u32_e64 v8, v6, s47                                  // 000000003EA8: D1340008 00005F06
	s_add_i32 s77, s77, 4                                      // 000000003EB0: 814D844D
	s_cmp_ge_u32 s77, s32                                      // 000000003EB4: BF09204D
	s_cbranch_scc1 label_0911                                  // 000000003EB8: BF850162
	global_atomic_pk_add_bf16 v8, v87, s[80:81]                // 000000003EBC: DD488000 00505708
	s_add_i32 s77, s77, 4                                      // 000000003EC4: 814D844D
	s_cmp_ge_u32 s77, s32                                      // 000000003EC8: BF09204D
	s_cbranch_scc1 label_0911                                  // 000000003ECC: BF85015D
	global_atomic_pk_add_bf16 v10, v88, s[80:81]               // 000000003ED0: DD488000 0050580A
	v_add_u32_e64 v12, v10, s47                                // 000000003ED8: D134000C 00005F0A
	s_add_i32 s77, s77, 4                                      // 000000003EE0: 814D844D
	s_cmp_ge_u32 s77, s32                                      // 000000003EE4: BF09204D
	s_cbranch_scc1 label_0911                                  // 000000003EE8: BF850156
	global_atomic_pk_add_bf16 v12, v89, s[80:81]               // 000000003EEC: DD488000 0050590C
	s_add_i32 s77, s77, 4                                      // 000000003EF4: 814D844D
	v_add_u32_e64 v4, v4, s49                                  // 000000003EF8: D1340004 00006304
	v_mov_b32_e32 v6, v4                                       // 000000003F00: 7E0C0304
	v_add_u32_e64 v10, v4, s48                                 // 000000003F04: D134000A 00006104
	s_cmp_ge_u32 s77, s32                                      // 000000003F0C: BF09204D
	s_cbranch_scc1 label_0911                                  // 000000003F10: BF85014C
	global_atomic_pk_add_bf16 v6, v90, s[80:81]                // 000000003F14: DD488000 00505A06
	v_add_u32_e64 v8, v6, s47                                  // 000000003F1C: D1340008 00005F06
	s_add_i32 s77, s77, 4                                      // 000000003F24: 814D844D
	s_cmp_ge_u32 s77, s32                                      // 000000003F28: BF09204D
	s_cbranch_scc1 label_0911                                  // 000000003F2C: BF850145
	global_atomic_pk_add_bf16 v8, v91, s[80:81]                // 000000003F30: DD488000 00505B08
	s_add_i32 s77, s77, 4                                      // 000000003F38: 814D844D
	s_cmp_ge_u32 s77, s32                                      // 000000003F3C: BF09204D
	s_cbranch_scc1 label_0911                                  // 000000003F40: BF850140
	global_atomic_pk_add_bf16 v10, v92, s[80:81]               // 000000003F44: DD488000 00505C0A
	v_add_u32_e64 v12, v10, s47                                // 000000003F4C: D134000C 00005F0A
	s_add_i32 s77, s77, 4                                      // 000000003F54: 814D844D
	s_cmp_ge_u32 s77, s32                                      // 000000003F58: BF09204D
	s_cbranch_scc1 label_0911                                  // 000000003F5C: BF850139
	global_atomic_pk_add_bf16 v12, v93, s[80:81]               // 000000003F60: DD488000 00505D0C
	s_add_i32 s77, s77, 4                                      // 000000003F68: 814D844D
	v_add_u32_e64 v4, v4, s49                                  // 000000003F6C: D1340004 00006304
	v_mov_b32_e32 v6, v4                                       // 000000003F74: 7E0C0304
	v_add_u32_e64 v10, v4, s48                                 // 000000003F78: D134000A 00006104
	s_cmp_ge_u32 s77, s32                                      // 000000003F80: BF09204D
	s_cbranch_scc1 label_0911                                  // 000000003F84: BF85012F
	global_atomic_pk_add_bf16 v6, v94, s[80:81]                // 000000003F88: DD488000 00505E06
	v_add_u32_e64 v8, v6, s47                                  // 000000003F90: D1340008 00005F06
	s_add_i32 s77, s77, 4                                      // 000000003F98: 814D844D
	s_cmp_ge_u32 s77, s32                                      // 000000003F9C: BF09204D
	s_cbranch_scc1 label_0911                                  // 000000003FA0: BF850128
	global_atomic_pk_add_bf16 v8, v95, s[80:81]                // 000000003FA4: DD488000 00505F08
	s_add_i32 s77, s77, 4                                      // 000000003FAC: 814D844D
	s_cmp_ge_u32 s77, s32                                      // 000000003FB0: BF09204D
	s_cbranch_scc1 label_0911                                  // 000000003FB4: BF850123
	global_atomic_pk_add_bf16 v10, v96, s[80:81]               // 000000003FB8: DD488000 0050600A
	v_add_u32_e64 v12, v10, s47                                // 000000003FC0: D134000C 00005F0A
	s_add_i32 s77, s77, 4                                      // 000000003FC8: 814D844D
	s_cmp_ge_u32 s77, s32                                      // 000000003FCC: BF09204D
	s_cbranch_scc1 label_0911                                  // 000000003FD0: BF85011C
	global_atomic_pk_add_bf16 v12, v97, s[80:81]               // 000000003FD4: DD488000 0050610C
	s_add_i32 s77, s77, 4                                      // 000000003FDC: 814D844D
	v_add_u32_e64 v4, v4, s49                                  // 000000003FE0: D1340004 00006304
	v_mov_b32_e32 v6, v4                                       // 000000003FE8: 7E0C0304
	v_add_u32_e64 v10, v4, s48                                 // 000000003FEC: D134000A 00006104
	s_cmp_ge_u32 s77, s32                                      // 000000003FF4: BF09204D
	s_cbranch_scc1 label_0911                                  // 000000003FF8: BF850112
	global_atomic_pk_add_bf16 v6, v98, s[80:81]                // 000000003FFC: DD488000 00506206
	v_add_u32_e64 v8, v6, s47                                  // 000000004004: D1340008 00005F06
	s_add_i32 s77, s77, 4                                      // 00000000400C: 814D844D
	s_cmp_ge_u32 s77, s32                                      // 000000004010: BF09204D
	s_cbranch_scc1 label_0911                                  // 000000004014: BF85010B
	global_atomic_pk_add_bf16 v8, v99, s[80:81]                // 000000004018: DD488000 00506308
	s_add_i32 s77, s77, 4                                      // 000000004020: 814D844D
	s_cmp_ge_u32 s77, s32                                      // 000000004024: BF09204D
	s_cbranch_scc1 label_0911                                  // 000000004028: BF850106
	global_atomic_pk_add_bf16 v10, v100, s[80:81]              // 00000000402C: DD488000 0050640A
	v_add_u32_e64 v12, v10, s47                                // 000000004034: D134000C 00005F0A
	s_add_i32 s77, s77, 4                                      // 00000000403C: 814D844D
	s_cmp_ge_u32 s77, s32                                      // 000000004040: BF09204D
	s_cbranch_scc1 label_0911                                  // 000000004044: BF8500FF
	global_atomic_pk_add_bf16 v12, v101, s[80:81]              // 000000004048: DD488000 0050650C
	s_add_i32 s77, s77, 4                                      // 000000004050: 814D844D
	v_add_u32_e64 v4, v4, s49                                  // 000000004054: D1340004 00006304
	v_mov_b32_e32 v6, v4                                       // 00000000405C: 7E0C0304
	v_add_u32_e64 v10, v4, s48                                 // 000000004060: D134000A 00006104
	s_cmp_ge_u32 s77, s32                                      // 000000004068: BF09204D
	s_cbranch_scc1 label_0911                                  // 00000000406C: BF8500F5
	global_atomic_pk_add_bf16 v6, v102, s[80:81]               // 000000004070: DD488000 00506606
	v_add_u32_e64 v8, v6, s47                                  // 000000004078: D1340008 00005F06
	s_add_i32 s77, s77, 4                                      // 000000004080: 814D844D
	s_cmp_ge_u32 s77, s32                                      // 000000004084: BF09204D
	s_cbranch_scc1 label_0911                                  // 000000004088: BF8500EE
	global_atomic_pk_add_bf16 v8, v103, s[80:81]               // 00000000408C: DD488000 00506708
	s_add_i32 s77, s77, 4                                      // 000000004094: 814D844D
	s_cmp_ge_u32 s77, s32                                      // 000000004098: BF09204D
	s_cbranch_scc1 label_0911                                  // 00000000409C: BF8500E9
	global_atomic_pk_add_bf16 v10, v104, s[80:81]              // 0000000040A0: DD488000 0050680A
	v_add_u32_e64 v12, v10, s47                                // 0000000040A8: D134000C 00005F0A
	s_add_i32 s77, s77, 4                                      // 0000000040B0: 814D844D
	s_cmp_ge_u32 s77, s32                                      // 0000000040B4: BF09204D
	s_cbranch_scc1 label_0911                                  // 0000000040B8: BF8500E2
	global_atomic_pk_add_bf16 v12, v105, s[80:81]              // 0000000040BC: DD488000 0050690C
	s_add_i32 s77, s77, 4                                      // 0000000040C4: 814D844D
	v_add_u32_e64 v4, v4, s49                                  // 0000000040C8: D1340004 00006304
	s_branch label_0911                                        // 0000000040D0: BF8200DC

00000000000040d4 <label_0835>:
	v_cvt_f32_i32_e32 v46, v46                                 // 0000000040D4: 7E5C0B2E
	v_cvt_f32_i32_e32 v47, v47                                 // 0000000040D8: 7E5E0B2F
	v_pk_mul_f32 v[46:47], v[46:47], v[116:117]                // 0000000040DC: D3B1402E 1802E92E
	v_fma_f32 v46, v46, v106, v130                             // 0000000040E4: D1CB002E 060AD52E
	v_fma_f32 v47, v47, v106, v131                             // 0000000040EC: D1CB002F 060ED52F
	v_perm_b32 v86, v47, v46, s45                              // 0000000040F4: D1ED0056 00B65D2F
	v_cvt_f32_i32_e32 v48, v48                                 // 0000000040FC: 7E600B30
	v_cvt_f32_i32_e32 v49, v49                                 // 000000004100: 7E620B31
	v_pk_mul_f32 v[48:49], v[48:49], v[118:119]                // 000000004104: D3B14030 1802ED30
	v_fma_f32 v48, v48, v106, v132                             // 00000000410C: D1CB0030 0612D530
	v_fma_f32 v49, v49, v106, v133                             // 000000004114: D1CB0031 0616D531
	v_perm_b32 v87, v49, v48, s45                              // 00000000411C: D1ED0057 00B66131
	buffer_store_dwordx2 v[86:87], v16, s[16:19], 0 offen      // 000000004124: E0741000 80045610
	v_cvt_f32_i32_e32 v50, v50                                 // 00000000412C: 7E640B32
	v_cvt_f32_i32_e32 v51, v51                                 // 000000004130: 7E660B33
	v_pk_mul_f32 v[50:51], v[50:51], v[120:121]                // 000000004134: D3B14032 1802F132
	v_fma_f32 v50, v50, v106, v134                             // 00000000413C: D1CB0032 061AD532
	v_fma_f32 v51, v51, v106, v135                             // 000000004144: D1CB0033 061ED533
	v_perm_b32 v88, v51, v50, s45                              // 00000000414C: D1ED0058 00B66533
	v_cvt_f32_i32_e32 v52, v52                                 // 000000004154: 7E680B34
	v_cvt_f32_i32_e32 v53, v53                                 // 000000004158: 7E6A0B35
	v_pk_mul_f32 v[52:53], v[52:53], v[122:123]                // 00000000415C: D3B14034 1802F534
	v_fma_f32 v52, v52, v106, v136                             // 000000004164: D1CB0034 0622D534
	v_fma_f32 v53, v53, v106, v137                             // 00000000416C: D1CB0035 0626D535
	v_perm_b32 v89, v53, v52, s45                              // 000000004174: D1ED0059 00B66935
	buffer_store_dwordx2 v[88:89], v16, s[16:19], 0 offen offset:32// 00000000417C: E0741020 80045810
	v_cvt_f32_i32_e32 v54, v54                                 // 000000004184: 7E6C0B36
	v_cvt_f32_i32_e32 v55, v55                                 // 000000004188: 7E6E0B37
	v_pk_mul_f32 v[54:55], v[54:55], v[116:117]                // 00000000418C: D3B14036 1802E936
	v_fma_f32 v54, v54, v107, v130                             // 000000004194: D1CB0036 060AD736
	v_fma_f32 v55, v55, v107, v131                             // 00000000419C: D1CB0037 060ED737
	v_perm_b32 v90, v55, v54, s45                              // 0000000041A4: D1ED005A 00B66D37
	v_cvt_f32_i32_e32 v56, v56                                 // 0000000041AC: 7E700B38
	v_cvt_f32_i32_e32 v57, v57                                 // 0000000041B0: 7E720B39
	v_pk_mul_f32 v[56:57], v[56:57], v[118:119]                // 0000000041B4: D3B14038 1802ED38
	v_fma_f32 v56, v56, v107, v132                             // 0000000041BC: D1CB0038 0612D738
	v_fma_f32 v57, v57, v107, v133                             // 0000000041C4: D1CB0039 0616D739
	v_perm_b32 v91, v57, v56, s45                              // 0000000041CC: D1ED005B 00B67139
	buffer_store_dwordx2 v[90:91], v17, s[16:19], 0 offen      // 0000000041D4: E0741000 80045A11
	v_cvt_f32_i32_e32 v58, v58                                 // 0000000041DC: 7E740B3A
	v_cvt_f32_i32_e32 v59, v59                                 // 0000000041E0: 7E760B3B
	v_pk_mul_f32 v[58:59], v[58:59], v[120:121]                // 0000000041E4: D3B1403A 1802F13A
	v_fma_f32 v58, v58, v107, v134                             // 0000000041EC: D1CB003A 061AD73A
	v_fma_f32 v59, v59, v107, v135                             // 0000000041F4: D1CB003B 061ED73B
	v_perm_b32 v92, v59, v58, s45                              // 0000000041FC: D1ED005C 00B6753B
	v_cvt_f32_i32_e32 v60, v60                                 // 000000004204: 7E780B3C
	v_cvt_f32_i32_e32 v61, v61                                 // 000000004208: 7E7A0B3D
	v_pk_mul_f32 v[60:61], v[60:61], v[122:123]                // 00000000420C: D3B1403C 1802F53C
	v_fma_f32 v60, v60, v107, v136                             // 000000004214: D1CB003C 0622D73C
	v_fma_f32 v61, v61, v107, v137                             // 00000000421C: D1CB003D 0626D73D
	v_perm_b32 v93, v61, v60, s45                              // 000000004224: D1ED005D 00B6793D
	buffer_store_dwordx2 v[92:93], v17, s[16:19], 0 offen offset:32// 00000000422C: E0741020 80045C11
	v_cvt_f32_i32_e32 v62, v62                                 // 000000004234: 7E7C0B3E
	v_cvt_f32_i32_e32 v63, v63                                 // 000000004238: 7E7E0B3F
	v_pk_mul_f32 v[62:63], v[62:63], v[116:117]                // 00000000423C: D3B1403E 1802E93E
	v_fma_f32 v62, v62, v108, v130                             // 000000004244: D1CB003E 060AD93E
	v_fma_f32 v63, v63, v108, v131                             // 00000000424C: D1CB003F 060ED93F
	v_perm_b32 v94, v63, v62, s45                              // 000000004254: D1ED005E 00B67D3F
	v_cvt_f32_i32_e32 v64, v64                                 // 00000000425C: 7E800B40
	v_cvt_f32_i32_e32 v65, v65                                 // 000000004260: 7E820B41
	v_pk_mul_f32 v[64:65], v[64:65], v[118:119]                // 000000004264: D3B14040 1802ED40
	v_fma_f32 v64, v64, v108, v132                             // 00000000426C: D1CB0040 0612D940
	v_fma_f32 v65, v65, v108, v133                             // 000000004274: D1CB0041 0616D941
	v_perm_b32 v95, v65, v64, s45                              // 00000000427C: D1ED005F 00B68141
	buffer_store_dwordx2 v[94:95], v18, s[16:19], 0 offen      // 000000004284: E0741000 80045E12
	v_cvt_f32_i32_e32 v66, v66                                 // 00000000428C: 7E840B42
	v_cvt_f32_i32_e32 v67, v67                                 // 000000004290: 7E860B43
	v_pk_mul_f32 v[66:67], v[66:67], v[120:121]                // 000000004294: D3B14042 1802F142
	v_fma_f32 v66, v66, v108, v134                             // 00000000429C: D1CB0042 061AD942
	v_fma_f32 v67, v67, v108, v135                             // 0000000042A4: D1CB0043 061ED943
	v_perm_b32 v96, v67, v66, s45                              // 0000000042AC: D1ED0060 00B68543
	v_cvt_f32_i32_e32 v68, v68                                 // 0000000042B4: 7E880B44
	v_cvt_f32_i32_e32 v69, v69                                 // 0000000042B8: 7E8A0B45
	v_pk_mul_f32 v[68:69], v[68:69], v[122:123]                // 0000000042BC: D3B14044 1802F544
	v_fma_f32 v68, v68, v108, v136                             // 0000000042C4: D1CB0044 0622D944
	v_fma_f32 v69, v69, v108, v137                             // 0000000042CC: D1CB0045 0626D945
	v_perm_b32 v97, v69, v68, s45                              // 0000000042D4: D1ED0061 00B68945
	buffer_store_dwordx2 v[96:97], v18, s[16:19], 0 offen offset:32// 0000000042DC: E0741020 80046012
	v_cvt_f32_i32_e32 v70, v70                                 // 0000000042E4: 7E8C0B46
	v_cvt_f32_i32_e32 v71, v71                                 // 0000000042E8: 7E8E0B47
	v_pk_mul_f32 v[70:71], v[70:71], v[116:117]                // 0000000042EC: D3B14046 1802E946
	v_fma_f32 v70, v70, v109, v130                             // 0000000042F4: D1CB0046 060ADB46
	v_fma_f32 v71, v71, v109, v131                             // 0000000042FC: D1CB0047 060EDB47
	v_perm_b32 v98, v71, v70, s45                              // 000000004304: D1ED0062 00B68D47
	v_cvt_f32_i32_e32 v72, v72                                 // 00000000430C: 7E900B48
	v_cvt_f32_i32_e32 v73, v73                                 // 000000004310: 7E920B49
	v_pk_mul_f32 v[72:73], v[72:73], v[118:119]                // 000000004314: D3B14048 1802ED48
	v_fma_f32 v72, v72, v109, v132                             // 00000000431C: D1CB0048 0612DB48
	v_fma_f32 v73, v73, v109, v133                             // 000000004324: D1CB0049 0616DB49
	v_perm_b32 v99, v73, v72, s45                              // 00000000432C: D1ED0063 00B69149
	buffer_store_dwordx2 v[98:99], v19, s[16:19], 0 offen      // 000000004334: E0741000 80046213
	v_cvt_f32_i32_e32 v74, v74                                 // 00000000433C: 7E940B4A
	v_cvt_f32_i32_e32 v75, v75                                 // 000000004340: 7E960B4B
	v_pk_mul_f32 v[74:75], v[74:75], v[120:121]                // 000000004344: D3B1404A 1802F14A
	v_fma_f32 v74, v74, v109, v134                             // 00000000434C: D1CB004A 061ADB4A
	v_fma_f32 v75, v75, v109, v135                             // 000000004354: D1CB004B 061EDB4B
	v_perm_b32 v100, v75, v74, s45                             // 00000000435C: D1ED0064 00B6954B
	v_cvt_f32_i32_e32 v76, v76                                 // 000000004364: 7E980B4C
	v_cvt_f32_i32_e32 v77, v77                                 // 000000004368: 7E9A0B4D
	v_pk_mul_f32 v[76:77], v[76:77], v[122:123]                // 00000000436C: D3B1404C 1802F54C
	v_fma_f32 v76, v76, v109, v136                             // 000000004374: D1CB004C 0622DB4C
	v_fma_f32 v77, v77, v109, v137                             // 00000000437C: D1CB004D 0626DB4D
	v_perm_b32 v101, v77, v76, s45                             // 000000004384: D1ED0065 00B6994D
	buffer_store_dwordx2 v[100:101], v19, s[16:19], 0 offen offset:32// 00000000438C: E0741020 80046413
	v_cvt_f32_i32_e32 v78, v78                                 // 000000004394: 7E9C0B4E
	v_cvt_f32_i32_e32 v79, v79                                 // 000000004398: 7E9E0B4F
	v_pk_mul_f32 v[78:79], v[78:79], v[116:117]                // 00000000439C: D3B1404E 1802E94E
	v_fma_f32 v78, v78, v110, v130                             // 0000000043A4: D1CB004E 060ADD4E
	v_fma_f32 v79, v79, v110, v131                             // 0000000043AC: D1CB004F 060EDD4F
	v_perm_b32 v102, v79, v78, s45                             // 0000000043B4: D1ED0066 00B69D4F
	v_cvt_f32_i32_e32 v80, v80                                 // 0000000043BC: 7EA00B50
	v_cvt_f32_i32_e32 v81, v81                                 // 0000000043C0: 7EA20B51
	v_pk_mul_f32 v[80:81], v[80:81], v[118:119]                // 0000000043C4: D3B14050 1802ED50
	v_fma_f32 v80, v80, v110, v132                             // 0000000043CC: D1CB0050 0612DD50
	v_fma_f32 v81, v81, v110, v133                             // 0000000043D4: D1CB0051 0616DD51
	v_perm_b32 v103, v81, v80, s45                             // 0000000043DC: D1ED0067 00B6A151
	buffer_store_dwordx2 v[102:103], v20, s[16:19], 0 offen    // 0000000043E4: E0741000 80046614
	v_cvt_f32_i32_e32 v82, v82                                 // 0000000043EC: 7EA40B52
	v_cvt_f32_i32_e32 v83, v83                                 // 0000000043F0: 7EA60B53
	v_pk_mul_f32 v[82:83], v[82:83], v[120:121]                // 0000000043F4: D3B14052 1802F152
	v_fma_f32 v82, v82, v110, v134                             // 0000000043FC: D1CB0052 061ADD52
	v_fma_f32 v83, v83, v110, v135                             // 000000004404: D1CB0053 061EDD53
	v_perm_b32 v104, v83, v82, s45                             // 00000000440C: D1ED0068 00B6A553
	v_cvt_f32_i32_e32 v84, v84                                 // 000000004414: 7EA80B54
	v_cvt_f32_i32_e32 v85, v85                                 // 000000004418: 7EAA0B55
	v_pk_mul_f32 v[84:85], v[84:85], v[122:123]                // 00000000441C: D3B14054 1802F554
	v_fma_f32 v84, v84, v110, v136                             // 000000004424: D1CB0054 0622DD54
	v_fma_f32 v85, v85, v110, v137                             // 00000000442C: D1CB0055 0626DD55
	v_perm_b32 v105, v85, v84, s45                             // 000000004434: D1ED0069 00B6A955
	buffer_store_dwordx2 v[104:105], v20, s[16:19], 0 offen offset:32// 00000000443C: E0741020 80046814

0000000000004444 <label_0911>:
	s_waitcnt vmcnt(0) expcnt(0) lgkmcnt(0)                    // 000000004444: BF8C0000
	s_endpgm                                                   // 000000004448: BF810000
